;; amdgpu-corpus repo=pytorch/pytorch kind=compiled arch=gfx906 opt=O3
	.amdgcn_target "amdgcn-amd-amdhsa--gfx906"
	.amdhsa_code_object_version 6
	.text
	.p2align	2                               ; -- Begin function _ZZZZN2at6native12_GLOBAL__N_121bessel_j1_kernel_cudaERNS_18TensorIteratorBaseEENKUlvE_clEvENKUlvE_clEvENKUldE_clEd
	.type	_ZZZZN2at6native12_GLOBAL__N_121bessel_j1_kernel_cudaERNS_18TensorIteratorBaseEENKUlvE_clEvENKUlvE_clEvENKUldE_clEd,@function
_ZZZZN2at6native12_GLOBAL__N_121bessel_j1_kernel_cudaERNS_18TensorIteratorBaseEENKUlvE_clEvENKUlvE_clEvENKUldE_clEd: ; @_ZZZZN2at6native12_GLOBAL__N_121bessel_j1_kernel_cudaERNS_18TensorIteratorBaseEENKUlvE_clEvENKUlvE_clEvENKUldE_clEd
; %bb.0:
	s_waitcnt vmcnt(0) expcnt(0) lgkmcnt(0)
	v_cmp_ngt_f64_e32 vcc, 0, v[0:1]
                                        ; implicit-def: $vgpr2_vgpr3
	s_and_saveexec_b64 s[4:5], vcc
	s_xor_b64 s[6:7], exec, s[4:5]
	s_cbranch_execz .LBB0_6
; %bb.1:
	s_mov_b32 s4, 0
	s_mov_b32 s5, 0x40140000
	v_cmp_ge_f64_e32 vcc, s[4:5], v[0:1]
                                        ; implicit-def: $vgpr2_vgpr3
	s_and_saveexec_b64 s[4:5], vcc
	s_xor_b64 s[4:5], exec, s[4:5]
	s_cbranch_execz .LBB0_3
; %bb.2:
	v_mul_f64 v[2:3], v[0:1], v[0:1]
	v_mov_b32_e32 v4, 0x1b7086e7
	v_mov_b32_e32 v5, 0x408366b1
	s_mov_b32 s8, 0xdd701b2
	s_mov_b32 s9, 0x410f5eda
	v_mov_b32_e32 v6, 0x4cda4fc5
	v_mov_b32_e32 v7, 0xc1cad23c
	s_mov_b32 s10, 0x3eccf45f
	v_fma_f64 v[4:5], v[2:3], 0, v[4:5]
	v_fma_f64 v[6:7], v[2:3], 0, v[6:7]
	s_mov_b32 s11, 0x43064b0a
	v_fma_f64 v[4:5], v[2:3], v[4:5], s[8:9]
	s_mov_b32 s8, 0xdc92a1b1
	s_mov_b32 s9, 0x4193e954
	v_fma_f64 v[4:5], v[2:3], v[4:5], s[8:9]
	s_mov_b32 s8, 0x7befeac1
	;; [unrolled: 3-line block ×8, first 2 shown]
	s_mov_b32 s11, 0x432a2b42
	v_fma_f64 v[6:7], v[2:3], v[6:7], s[10:11]
	v_fma_f64 v[2:3], v[2:3], v[4:5], s[8:9]
	v_div_scale_f64 v[4:5], s[8:9], v[2:3], v[2:3], v[6:7]
	s_mov_b32 s8, 0x4189822c
	s_mov_b32 s9, 0xc02d5d2b
	v_rcp_f64_e32 v[8:9], v[4:5]
	v_fma_f64 v[10:11], -v[4:5], v[8:9], 1.0
	v_fma_f64 v[8:9], v[8:9], v[10:11], v[8:9]
	v_div_scale_f64 v[10:11], vcc, v[6:7], v[2:3], v[6:7]
	v_fma_f64 v[12:13], -v[4:5], v[8:9], 1.0
	v_fma_f64 v[8:9], v[8:9], v[12:13], v[8:9]
	v_mul_f64 v[12:13], v[10:11], v[8:9]
	v_fma_f64 v[4:5], -v[4:5], v[12:13], v[10:11]
	v_div_fmas_f64 v[4:5], v[4:5], v[8:9], v[12:13]
	v_div_fixup_f64 v[2:3], v[4:5], v[2:3], v[6:7]
	v_fma_f64 v[4:5], v[0:1], v[0:1], s[8:9]
	s_mov_b32 s8, 0x6072a432
	s_mov_b32 s9, 0xc0489bf6
	v_mul_f64 v[2:3], v[0:1], v[2:3]
	v_fma_f64 v[0:1], v[0:1], v[0:1], s[8:9]
	v_mul_f64 v[2:3], v[4:5], v[2:3]
	v_mul_f64 v[2:3], v[0:1], v[2:3]
                                        ; implicit-def: $vgpr0_vgpr1
.LBB0_3:
	s_andn2_saveexec_b64 s[8:9], s[4:5]
	s_cbranch_execz .LBB0_23
; %bb.4:
	s_mov_b32 s4, 0x7f3321d2
	s_mov_b32 s5, 0xc002d97c
	v_add_f64 v[2:3], v[0:1], s[4:5]
	s_mov_b32 s4, 0
	s_mov_b32 s5, 0x41d00000
                                        ; implicit-def: $vgpr23
                                        ; implicit-def: $vgpr10_vgpr11
                                        ; implicit-def: $vgpr12_vgpr13
	v_trig_preop_f64 v[16:17], |v[2:3]|, 0
	v_trig_preop_f64 v[14:15], |v[2:3]|, 1
	;; [unrolled: 1-line block ×3, first 2 shown]
	v_cmp_nlt_f64_e64 s[10:11], |v[2:3]|, s[4:5]
	s_and_saveexec_b64 s[4:5], s[10:11]
	s_xor_b64 s[12:13], exec, s[4:5]
	s_cbranch_execz .LBB0_12
; %bb.5:
	s_mov_b32 s4, 0
	s_mov_b32 s5, 0x7b000000
	s_movk_i32 s14, 0xff80
	v_ldexp_f64 v[4:5], |v[2:3]|, s14
	v_cmp_ge_f64_e64 vcc, |v[2:3]|, s[4:5]
	v_and_b32_e32 v6, 0x7fffffff, v3
	s_mov_b32 s4, 0
	s_mov_b32 s5, 0x7ff00000
	v_mov_b32_e32 v31, 0x40100000
	v_mov_b32_e32 v30, 0
	s_mov_b32 s14, 0x33145c07
	s_mov_b32 s15, 0x3c91a626
	v_cndmask_b32_e32 v5, v6, v5, vcc
	v_cndmask_b32_e32 v4, v2, v4, vcc
	v_mul_f64 v[6:7], v[16:17], v[4:5]
	v_mul_f64 v[10:11], v[14:15], v[4:5]
	;; [unrolled: 1-line block ×3, first 2 shown]
	v_fma_f64 v[12:13], v[16:17], v[4:5], -v[6:7]
	v_fma_f64 v[26:27], v[14:15], v[4:5], -v[10:11]
	;; [unrolled: 1-line block ×3, first 2 shown]
	v_add_f64 v[18:19], v[10:11], v[12:13]
	v_add_f64 v[20:21], v[18:19], -v[10:11]
	v_add_f64 v[28:29], v[6:7], v[18:19]
	v_add_f64 v[22:23], v[18:19], -v[20:21]
	v_add_f64 v[12:13], v[12:13], -v[20:21]
	v_add_f64 v[20:21], v[24:25], v[26:27]
	v_add_f64 v[6:7], v[28:29], -v[6:7]
	v_add_f64 v[10:11], v[10:11], -v[22:23]
	v_ldexp_f64 v[22:23], v[28:29], -2
	v_add_f64 v[32:33], v[20:21], -v[24:25]
	v_add_f64 v[6:7], v[18:19], -v[6:7]
	v_add_f64 v[10:11], v[12:13], v[10:11]
	v_fract_f64_e32 v[12:13], v[22:23]
	v_cmp_neq_f64_e64 vcc, |v[22:23]|, s[4:5]
	v_add_f64 v[26:27], v[26:27], -v[32:33]
	v_add_f64 v[18:19], v[20:21], v[10:11]
	v_ldexp_f64 v[12:13], v[12:13], 2
	v_add_f64 v[22:23], v[6:7], v[18:19]
	v_cndmask_b32_e32 v13, 0, v13, vcc
	v_cndmask_b32_e32 v12, 0, v12, vcc
	v_add_f64 v[34:35], v[18:19], -v[20:21]
	v_add_f64 v[28:29], v[22:23], v[12:13]
	v_add_f64 v[6:7], v[22:23], -v[6:7]
	v_add_f64 v[36:37], v[18:19], -v[34:35]
	;; [unrolled: 1-line block ×3, first 2 shown]
	v_cmp_gt_f64_e32 vcc, 0, v[28:29]
	v_add_f64 v[28:29], v[20:21], -v[32:33]
	v_add_f64 v[6:7], v[18:19], -v[6:7]
	;; [unrolled: 1-line block ×3, first 2 shown]
	v_cndmask_b32_e32 v31, 0, v31, vcc
	v_add_f64 v[12:13], v[12:13], v[30:31]
	v_add_f64 v[28:29], v[24:25], -v[28:29]
	v_add_f64 v[10:11], v[10:11], v[20:21]
	v_add_f64 v[31:32], v[22:23], v[12:13]
	;; [unrolled: 1-line block ×3, first 2 shown]
	v_cvt_i32_f64_e32 v33, v[31:32]
	v_add_f64 v[10:11], v[26:27], v[10:11]
	v_cvt_f64_i32_e32 v[31:32], v33
	v_add_f64 v[12:13], v[12:13], -v[31:32]
	v_add_f64 v[4:5], v[4:5], v[10:11]
	v_add_f64 v[20:21], v[22:23], v[12:13]
	;; [unrolled: 1-line block ×3, first 2 shown]
	v_add_f64 v[10:11], v[20:21], -v[12:13]
	v_cmp_le_f64_e32 vcc, 0.5, v[20:21]
	v_add_f64 v[6:7], v[22:23], -v[10:11]
	v_mov_b32_e32 v10, 0x3ff00000
	v_cndmask_b32_e32 v31, 0, v10, vcc
	v_addc_co_u32_e64 v23, s[4:5], 0, v33, vcc
	s_mov_b32 s4, 0x54442d18
	s_mov_b32 s5, 0x3ff921fb
	v_add_f64 v[4:5], v[4:5], v[6:7]
	v_add_f64 v[6:7], v[20:21], -v[30:31]
	v_add_f64 v[10:11], v[6:7], v[4:5]
	v_mul_f64 v[12:13], v[10:11], s[4:5]
	v_add_f64 v[6:7], v[10:11], -v[6:7]
	v_fma_f64 v[18:19], v[10:11], s[4:5], -v[12:13]
	v_add_f64 v[4:5], v[4:5], -v[6:7]
	v_fma_f64 v[6:7], v[10:11], s[14:15], v[18:19]
	v_fma_f64 v[4:5], v[4:5], s[4:5], v[6:7]
	v_add_f64 v[10:11], v[12:13], v[4:5]
	v_add_f64 v[6:7], v[10:11], -v[12:13]
	v_add_f64 v[12:13], v[4:5], -v[6:7]
	s_andn2_saveexec_b64 s[4:5], s[12:13]
	s_cbranch_execz .LBB0_14
	s_branch .LBB0_13
.LBB0_6:
	s_andn2_saveexec_b64 s[6:7], s[6:7]
	s_cbranch_execz .LBB0_24
.LBB0_7:
	s_mov_b32 s4, 0
	s_mov_b32 s5, 0xc0140000
	v_cmp_le_f64_e32 vcc, s[4:5], v[0:1]
                                        ; implicit-def: $vgpr2_vgpr3
	s_and_saveexec_b64 s[4:5], vcc
	s_xor_b64 s[4:5], exec, s[4:5]
	s_cbranch_execz .LBB0_9
; %bb.8:
	v_mul_f64 v[2:3], v[0:1], v[0:1]
	v_mov_b32_e32 v4, 0x1b7086e7
	v_mov_b32_e32 v5, 0x408366b1
	s_mov_b32 s8, 0xdd701b2
	s_mov_b32 s9, 0x410f5eda
	v_mov_b32_e32 v6, 0x4cda4fc5
	v_mov_b32_e32 v7, 0xc1cad23c
	s_mov_b32 s10, 0x3eccf45f
	v_fma_f64 v[4:5], v[2:3], 0, v[4:5]
	v_fma_f64 v[6:7], v[2:3], 0, v[6:7]
	s_mov_b32 s11, 0x43064b0a
	v_fma_f64 v[4:5], v[2:3], v[4:5], s[8:9]
	s_mov_b32 s8, 0xdc92a1b1
	s_mov_b32 s9, 0x4193e954
	v_fma_f64 v[4:5], v[2:3], v[4:5], s[8:9]
	s_mov_b32 s8, 0x7befeac1
	;; [unrolled: 3-line block ×8, first 2 shown]
	s_mov_b32 s11, 0x432a2b42
	v_fma_f64 v[6:7], v[2:3], v[6:7], s[10:11]
	v_fma_f64 v[2:3], v[2:3], v[4:5], s[8:9]
	v_div_scale_f64 v[4:5], s[8:9], v[2:3], v[2:3], v[6:7]
	s_mov_b32 s8, 0x4189822c
	s_mov_b32 s9, 0xc02d5d2b
	v_rcp_f64_e32 v[8:9], v[4:5]
	v_fma_f64 v[10:11], -v[4:5], v[8:9], 1.0
	v_fma_f64 v[8:9], v[8:9], v[10:11], v[8:9]
	v_div_scale_f64 v[10:11], vcc, v[6:7], v[2:3], v[6:7]
	v_fma_f64 v[12:13], -v[4:5], v[8:9], 1.0
	v_fma_f64 v[8:9], v[8:9], v[12:13], v[8:9]
	v_mul_f64 v[12:13], v[10:11], v[8:9]
	v_fma_f64 v[4:5], -v[4:5], v[12:13], v[10:11]
	v_div_fmas_f64 v[4:5], v[4:5], v[8:9], v[12:13]
	v_div_fixup_f64 v[2:3], v[4:5], v[2:3], v[6:7]
	v_fma_f64 v[4:5], v[0:1], v[0:1], s[8:9]
	s_mov_b32 s8, 0x6072a432
	s_mov_b32 s9, 0xc0489bf6
	v_mul_f64 v[2:3], v[2:3], -v[0:1]
	v_fma_f64 v[0:1], v[0:1], v[0:1], s[8:9]
	v_mul_f64 v[2:3], v[4:5], v[2:3]
	v_mul_f64 v[2:3], v[0:1], v[2:3]
                                        ; implicit-def: $vgpr0_vgpr1
.LBB0_9:
	s_andn2_saveexec_b64 s[8:9], s[4:5]
	s_cbranch_execz .LBB0_28
; %bb.10:
	s_mov_b32 s4, 0x7f3321d2
	s_mov_b32 s5, 0xc002d97c
	v_add_f64 v[2:3], -v[0:1], s[4:5]
	s_mov_b32 s4, 0
	s_mov_b32 s5, 0x41d00000
                                        ; implicit-def: $vgpr19
                                        ; implicit-def: $vgpr10_vgpr11
                                        ; implicit-def: $vgpr12_vgpr13
	v_trig_preop_f64 v[16:17], |v[2:3]|, 0
	v_trig_preop_f64 v[14:15], |v[2:3]|, 1
	;; [unrolled: 1-line block ×3, first 2 shown]
	v_cmp_nlt_f64_e64 s[10:11], |v[2:3]|, s[4:5]
	s_and_saveexec_b64 s[4:5], s[10:11]
	s_xor_b64 s[12:13], exec, s[4:5]
	s_cbranch_execz .LBB0_16
; %bb.11:
	s_mov_b32 s4, 0
	s_mov_b32 s5, 0x7b000000
	s_movk_i32 s14, 0xff80
	v_ldexp_f64 v[4:5], |v[2:3]|, s14
	v_cmp_ge_f64_e64 vcc, |v[2:3]|, s[4:5]
	v_and_b32_e32 v6, 0x7fffffff, v3
	s_mov_b32 s4, 0
	s_mov_b32 s5, 0x7ff00000
	v_mov_b32_e32 v31, 0x40100000
	v_mov_b32_e32 v30, 0
	s_mov_b32 s14, 0x33145c07
	s_mov_b32 s15, 0x3c91a626
	v_cndmask_b32_e32 v5, v6, v5, vcc
	v_cndmask_b32_e32 v4, v2, v4, vcc
	v_mul_f64 v[6:7], v[16:17], v[4:5]
	v_mul_f64 v[10:11], v[14:15], v[4:5]
	;; [unrolled: 1-line block ×3, first 2 shown]
	v_fma_f64 v[12:13], v[16:17], v[4:5], -v[6:7]
	v_fma_f64 v[26:27], v[14:15], v[4:5], -v[10:11]
	v_fma_f64 v[4:5], v[8:9], v[4:5], -v[24:25]
	v_add_f64 v[18:19], v[10:11], v[12:13]
	v_add_f64 v[20:21], v[18:19], -v[10:11]
	v_add_f64 v[28:29], v[6:7], v[18:19]
	v_add_f64 v[22:23], v[18:19], -v[20:21]
	v_add_f64 v[12:13], v[12:13], -v[20:21]
	v_add_f64 v[20:21], v[24:25], v[26:27]
	v_add_f64 v[6:7], v[28:29], -v[6:7]
	v_add_f64 v[10:11], v[10:11], -v[22:23]
	v_ldexp_f64 v[22:23], v[28:29], -2
	v_add_f64 v[32:33], v[20:21], -v[24:25]
	v_add_f64 v[6:7], v[18:19], -v[6:7]
	v_add_f64 v[10:11], v[12:13], v[10:11]
	v_fract_f64_e32 v[12:13], v[22:23]
	v_cmp_neq_f64_e64 vcc, |v[22:23]|, s[4:5]
	v_add_f64 v[26:27], v[26:27], -v[32:33]
	v_add_f64 v[18:19], v[20:21], v[10:11]
	v_ldexp_f64 v[12:13], v[12:13], 2
	v_add_f64 v[22:23], v[6:7], v[18:19]
	v_cndmask_b32_e32 v13, 0, v13, vcc
	v_cndmask_b32_e32 v12, 0, v12, vcc
	v_add_f64 v[34:35], v[18:19], -v[20:21]
	v_add_f64 v[28:29], v[22:23], v[12:13]
	v_add_f64 v[6:7], v[22:23], -v[6:7]
	v_add_f64 v[36:37], v[18:19], -v[34:35]
	;; [unrolled: 1-line block ×3, first 2 shown]
	v_cmp_gt_f64_e32 vcc, 0, v[28:29]
	v_add_f64 v[28:29], v[20:21], -v[32:33]
	v_add_f64 v[6:7], v[18:19], -v[6:7]
	;; [unrolled: 1-line block ×3, first 2 shown]
	v_cndmask_b32_e32 v31, 0, v31, vcc
	v_add_f64 v[12:13], v[12:13], v[30:31]
	v_add_f64 v[28:29], v[24:25], -v[28:29]
	v_add_f64 v[10:11], v[10:11], v[20:21]
	v_add_f64 v[31:32], v[22:23], v[12:13]
	;; [unrolled: 1-line block ×3, first 2 shown]
	v_cvt_i32_f64_e32 v33, v[31:32]
	v_add_f64 v[10:11], v[26:27], v[10:11]
	v_cvt_f64_i32_e32 v[31:32], v33
	v_add_f64 v[12:13], v[12:13], -v[31:32]
	v_add_f64 v[4:5], v[4:5], v[10:11]
	v_add_f64 v[20:21], v[22:23], v[12:13]
	v_add_f64 v[4:5], v[6:7], v[4:5]
	v_add_f64 v[10:11], v[20:21], -v[12:13]
	v_cmp_le_f64_e32 vcc, 0.5, v[20:21]
	v_add_f64 v[6:7], v[22:23], -v[10:11]
	v_mov_b32_e32 v10, 0x3ff00000
	v_cndmask_b32_e32 v31, 0, v10, vcc
	v_addc_co_u32_e64 v19, s[4:5], 0, v33, vcc
	s_mov_b32 s4, 0x54442d18
	s_mov_b32 s5, 0x3ff921fb
	v_add_f64 v[4:5], v[4:5], v[6:7]
	v_add_f64 v[6:7], v[20:21], -v[30:31]
	v_add_f64 v[10:11], v[6:7], v[4:5]
	v_mul_f64 v[12:13], v[10:11], s[4:5]
	v_add_f64 v[6:7], v[10:11], -v[6:7]
	v_fma_f64 v[20:21], v[10:11], s[4:5], -v[12:13]
	v_add_f64 v[4:5], v[4:5], -v[6:7]
	v_fma_f64 v[6:7], v[10:11], s[14:15], v[20:21]
	v_fma_f64 v[4:5], v[4:5], s[4:5], v[6:7]
	v_add_f64 v[10:11], v[12:13], v[4:5]
	v_add_f64 v[6:7], v[10:11], -v[12:13]
	v_add_f64 v[12:13], v[4:5], -v[6:7]
	s_andn2_saveexec_b64 s[4:5], s[12:13]
	s_cbranch_execz .LBB0_18
	s_branch .LBB0_17
.LBB0_12:
	s_andn2_saveexec_b64 s[4:5], s[12:13]
	s_cbranch_execz .LBB0_14
.LBB0_13:
	s_mov_b32 s12, 0x6dc9c883
	s_mov_b32 s13, 0x3fe45f30
	v_mul_f64 v[4:5], |v[2:3]|, s[12:13]
	s_mov_b32 s12, 0x54442d18
	s_mov_b32 s13, 0xbff921fb
	;; [unrolled: 1-line block ×4, first 2 shown]
	v_rndne_f64_e32 v[4:5], v[4:5]
	v_fma_f64 v[6:7], v[4:5], s[12:13], |v[2:3]|
	v_mul_f64 v[10:11], v[4:5], s[14:15]
	s_mov_b32 s12, 0x252049c0
	s_mov_b32 s13, 0xb97b839a
	v_cvt_i32_f64_e32 v23, v[4:5]
	v_add_f64 v[12:13], v[6:7], v[10:11]
	v_add_f64 v[18:19], v[6:7], -v[12:13]
	v_fma_f64 v[6:7], v[4:5], s[14:15], v[6:7]
	s_mov_b32 s15, 0x3c91a626
	v_add_f64 v[18:19], v[18:19], v[10:11]
	v_add_f64 v[12:13], v[12:13], -v[6:7]
	v_fma_f64 v[10:11], v[4:5], s[14:15], v[10:11]
	v_add_f64 v[12:13], v[12:13], v[18:19]
	v_add_f64 v[10:11], v[12:13], -v[10:11]
	v_fma_f64 v[12:13], v[4:5], s[12:13], v[10:11]
	v_add_f64 v[10:11], v[6:7], v[12:13]
	v_add_f64 v[6:7], v[10:11], -v[6:7]
	v_add_f64 v[12:13], v[12:13], -v[6:7]
.LBB0_14:
	s_or_b64 exec, exec, s[4:5]
                                        ; implicit-def: $vgpr22
                                        ; implicit-def: $vgpr4_vgpr5
                                        ; implicit-def: $vgpr6_vgpr7
	s_and_saveexec_b64 s[4:5], s[10:11]
	s_xor_b64 s[10:11], exec, s[4:5]
	s_cbranch_execz .LBB0_20
; %bb.15:
	s_mov_b32 s4, 0
	s_mov_b32 s5, 0x7b000000
	v_cmp_ge_f64_e64 vcc, |v[2:3]|, s[4:5]
	s_movk_i32 s4, 0xff80
	v_ldexp_f64 v[4:5], |v[2:3]|, s4
	v_and_b32_e32 v6, 0x7fffffff, v3
	s_mov_b32 s4, 0
	s_mov_b32 s5, 0x7ff00000
	;; [unrolled: 1-line block ×4, first 2 shown]
	v_cndmask_b32_e32 v5, v6, v5, vcc
	v_cndmask_b32_e32 v4, v2, v4, vcc
	v_mul_f64 v[18:19], v[16:17], v[4:5]
	v_mul_f64 v[6:7], v[14:15], v[4:5]
	v_fma_f64 v[16:17], v[16:17], v[4:5], -v[18:19]
	v_add_f64 v[20:21], v[6:7], v[16:17]
	v_add_f64 v[30:31], v[20:21], -v[6:7]
	v_add_f64 v[24:25], v[18:19], v[20:21]
	v_add_f64 v[16:17], v[16:17], -v[30:31]
	v_add_f64 v[30:31], v[20:21], -v[30:31]
	v_ldexp_f64 v[26:27], v[24:25], -2
	v_add_f64 v[18:19], v[24:25], -v[18:19]
	v_add_f64 v[30:31], v[6:7], -v[30:31]
	v_fma_f64 v[6:7], v[14:15], v[4:5], -v[6:7]
	v_mul_f64 v[14:15], v[8:9], v[4:5]
	v_fract_f64_e32 v[28:29], v[26:27]
	v_add_f64 v[18:19], v[20:21], -v[18:19]
	v_cmp_neq_f64_e64 vcc, |v[26:27]|, s[4:5]
	v_add_f64 v[16:17], v[16:17], v[30:31]
	v_add_f64 v[30:31], v[14:15], v[6:7]
	v_fma_f64 v[4:5], v[8:9], v[4:5], -v[14:15]
	v_add_f64 v[32:33], v[30:31], v[16:17]
	v_add_f64 v[24:25], v[32:33], -v[30:31]
	v_add_f64 v[20:21], v[18:19], v[32:33]
	v_add_f64 v[16:17], v[16:17], -v[24:25]
	v_add_f64 v[24:25], v[32:33], -v[24:25]
	v_add_f64 v[18:19], v[20:21], -v[18:19]
	v_add_f64 v[24:25], v[30:31], -v[24:25]
	v_add_f64 v[18:19], v[32:33], -v[18:19]
	v_add_f64 v[16:17], v[16:17], v[24:25]
	v_add_f64 v[24:25], v[30:31], -v[14:15]
	v_add_f64 v[6:7], v[6:7], -v[24:25]
	;; [unrolled: 1-line block ×4, first 2 shown]
	v_add_f64 v[6:7], v[6:7], v[24:25]
	v_add_f64 v[6:7], v[6:7], v[16:17]
	;; [unrolled: 1-line block ×3, first 2 shown]
	v_ldexp_f64 v[6:7], v[28:29], 2
	v_add_f64 v[4:5], v[18:19], v[4:5]
	v_cndmask_b32_e32 v7, 0, v7, vcc
	v_cndmask_b32_e32 v6, 0, v6, vcc
	v_add_f64 v[8:9], v[20:21], v[6:7]
	v_cmp_gt_f64_e32 vcc, 0, v[8:9]
	v_mov_b32_e32 v8, 0x40100000
	v_cndmask_b32_e32 v9, 0, v8, vcc
	v_mov_b32_e32 v8, 0
	v_add_f64 v[6:7], v[6:7], v[8:9]
	v_add_f64 v[14:15], v[20:21], v[6:7]
	v_cvt_i32_f64_e32 v9, v[14:15]
	v_cvt_f64_i32_e32 v[14:15], v9
	v_add_f64 v[6:7], v[6:7], -v[14:15]
	v_add_f64 v[14:15], v[20:21], v[6:7]
	v_add_f64 v[6:7], v[14:15], -v[6:7]
	v_cmp_le_f64_e32 vcc, 0.5, v[14:15]
	v_add_f64 v[6:7], v[20:21], -v[6:7]
	v_addc_co_u32_e64 v22, s[4:5], 0, v9, vcc
	s_mov_b32 s4, 0x54442d18
	s_mov_b32 s5, 0x3ff921fb
	v_add_f64 v[4:5], v[4:5], v[6:7]
	v_mov_b32_e32 v6, 0x3ff00000
	v_cndmask_b32_e32 v9, 0, v6, vcc
	v_add_f64 v[6:7], v[14:15], -v[8:9]
	v_add_f64 v[8:9], v[6:7], v[4:5]
	v_add_f64 v[6:7], v[8:9], -v[6:7]
	v_add_f64 v[4:5], v[4:5], -v[6:7]
	v_mul_f64 v[6:7], v[8:9], s[4:5]
	v_fma_f64 v[14:15], v[8:9], s[4:5], -v[6:7]
	v_fma_f64 v[8:9], v[8:9], s[12:13], v[14:15]
	v_fma_f64 v[8:9], v[4:5], s[4:5], v[8:9]
	v_add_f64 v[4:5], v[6:7], v[8:9]
	v_add_f64 v[6:7], v[4:5], -v[6:7]
	v_add_f64 v[6:7], v[8:9], -v[6:7]
	s_andn2_saveexec_b64 s[4:5], s[10:11]
	s_cbranch_execnz .LBB0_21
	s_branch .LBB0_22
.LBB0_16:
	s_andn2_saveexec_b64 s[4:5], s[12:13]
	s_cbranch_execz .LBB0_18
.LBB0_17:
	s_mov_b32 s12, 0x6dc9c883
	s_mov_b32 s13, 0x3fe45f30
	v_mul_f64 v[4:5], |v[2:3]|, s[12:13]
	s_mov_b32 s12, 0x54442d18
	s_mov_b32 s13, 0xbff921fb
	s_mov_b32 s15, 0xbc91a626
	s_mov_b32 s14, 0x33145c00
	v_rndne_f64_e32 v[4:5], v[4:5]
	v_fma_f64 v[6:7], v[4:5], s[12:13], |v[2:3]|
	v_mul_f64 v[10:11], v[4:5], s[14:15]
	s_mov_b32 s12, 0x252049c0
	s_mov_b32 s13, 0xb97b839a
	v_add_f64 v[12:13], v[6:7], v[10:11]
	v_add_f64 v[18:19], v[6:7], -v[12:13]
	v_fma_f64 v[6:7], v[4:5], s[14:15], v[6:7]
	s_mov_b32 s15, 0x3c91a626
	v_add_f64 v[18:19], v[18:19], v[10:11]
	v_add_f64 v[12:13], v[12:13], -v[6:7]
	v_fma_f64 v[10:11], v[4:5], s[14:15], v[10:11]
	v_add_f64 v[12:13], v[12:13], v[18:19]
	v_cvt_i32_f64_e32 v19, v[4:5]
	v_add_f64 v[10:11], v[12:13], -v[10:11]
	v_fma_f64 v[12:13], v[4:5], s[12:13], v[10:11]
	v_add_f64 v[10:11], v[6:7], v[12:13]
	v_add_f64 v[6:7], v[10:11], -v[6:7]
	v_add_f64 v[12:13], v[12:13], -v[6:7]
.LBB0_18:
	s_or_b64 exec, exec, s[4:5]
                                        ; implicit-def: $vgpr18
                                        ; implicit-def: $vgpr4_vgpr5
                                        ; implicit-def: $vgpr6_vgpr7
	s_and_saveexec_b64 s[4:5], s[10:11]
	s_xor_b64 s[10:11], exec, s[4:5]
	s_cbranch_execz .LBB0_25
; %bb.19:
	s_mov_b32 s4, 0
	s_mov_b32 s5, 0x7b000000
	v_cmp_ge_f64_e64 vcc, |v[2:3]|, s[4:5]
	s_movk_i32 s4, 0xff80
	v_ldexp_f64 v[4:5], |v[2:3]|, s4
	v_and_b32_e32 v6, 0x7fffffff, v3
	s_mov_b32 s4, 0
	s_mov_b32 s5, 0x7ff00000
	;; [unrolled: 1-line block ×4, first 2 shown]
	v_cndmask_b32_e32 v5, v6, v5, vcc
	v_cndmask_b32_e32 v4, v2, v4, vcc
	v_mul_f64 v[20:21], v[16:17], v[4:5]
	v_mul_f64 v[6:7], v[14:15], v[4:5]
	v_fma_f64 v[16:17], v[16:17], v[4:5], -v[20:21]
	v_add_f64 v[22:23], v[6:7], v[16:17]
	v_add_f64 v[30:31], v[22:23], -v[6:7]
	v_add_f64 v[24:25], v[20:21], v[22:23]
	v_add_f64 v[16:17], v[16:17], -v[30:31]
	v_add_f64 v[30:31], v[22:23], -v[30:31]
	v_ldexp_f64 v[26:27], v[24:25], -2
	v_add_f64 v[20:21], v[24:25], -v[20:21]
	v_add_f64 v[30:31], v[6:7], -v[30:31]
	v_fma_f64 v[6:7], v[14:15], v[4:5], -v[6:7]
	v_mul_f64 v[14:15], v[8:9], v[4:5]
	v_fract_f64_e32 v[28:29], v[26:27]
	v_add_f64 v[20:21], v[22:23], -v[20:21]
	v_cmp_neq_f64_e64 vcc, |v[26:27]|, s[4:5]
	v_add_f64 v[16:17], v[16:17], v[30:31]
	v_add_f64 v[30:31], v[14:15], v[6:7]
	v_fma_f64 v[4:5], v[8:9], v[4:5], -v[14:15]
	v_add_f64 v[32:33], v[30:31], v[16:17]
	v_add_f64 v[24:25], v[32:33], -v[30:31]
	v_add_f64 v[22:23], v[20:21], v[32:33]
	v_add_f64 v[16:17], v[16:17], -v[24:25]
	v_add_f64 v[24:25], v[32:33], -v[24:25]
	;; [unrolled: 1-line block ×5, first 2 shown]
	v_add_f64 v[16:17], v[16:17], v[24:25]
	v_add_f64 v[24:25], v[30:31], -v[14:15]
	v_add_f64 v[6:7], v[6:7], -v[24:25]
	;; [unrolled: 1-line block ×4, first 2 shown]
	v_add_f64 v[6:7], v[6:7], v[24:25]
	v_add_f64 v[6:7], v[6:7], v[16:17]
	;; [unrolled: 1-line block ×3, first 2 shown]
	v_ldexp_f64 v[6:7], v[28:29], 2
	v_add_f64 v[4:5], v[20:21], v[4:5]
	v_cndmask_b32_e32 v7, 0, v7, vcc
	v_cndmask_b32_e32 v6, 0, v6, vcc
	v_add_f64 v[8:9], v[22:23], v[6:7]
	v_cmp_gt_f64_e32 vcc, 0, v[8:9]
	v_mov_b32_e32 v8, 0x40100000
	v_cndmask_b32_e32 v9, 0, v8, vcc
	v_mov_b32_e32 v8, 0
	v_add_f64 v[6:7], v[6:7], v[8:9]
	v_add_f64 v[14:15], v[22:23], v[6:7]
	v_cvt_i32_f64_e32 v9, v[14:15]
	v_cvt_f64_i32_e32 v[14:15], v9
	v_add_f64 v[6:7], v[6:7], -v[14:15]
	v_add_f64 v[14:15], v[22:23], v[6:7]
	v_add_f64 v[6:7], v[14:15], -v[6:7]
	v_cmp_le_f64_e32 vcc, 0.5, v[14:15]
	v_add_f64 v[6:7], v[22:23], -v[6:7]
	v_addc_co_u32_e64 v18, s[4:5], 0, v9, vcc
	s_mov_b32 s4, 0x54442d18
	s_mov_b32 s5, 0x3ff921fb
	v_add_f64 v[4:5], v[4:5], v[6:7]
	v_mov_b32_e32 v6, 0x3ff00000
	v_cndmask_b32_e32 v9, 0, v6, vcc
	v_add_f64 v[6:7], v[14:15], -v[8:9]
	v_add_f64 v[8:9], v[6:7], v[4:5]
	v_add_f64 v[6:7], v[8:9], -v[6:7]
	v_add_f64 v[4:5], v[4:5], -v[6:7]
	v_mul_f64 v[6:7], v[8:9], s[4:5]
	v_fma_f64 v[14:15], v[8:9], s[4:5], -v[6:7]
	v_fma_f64 v[8:9], v[8:9], s[12:13], v[14:15]
	v_fma_f64 v[8:9], v[4:5], s[4:5], v[8:9]
	v_add_f64 v[4:5], v[6:7], v[8:9]
	v_add_f64 v[6:7], v[4:5], -v[6:7]
	v_add_f64 v[6:7], v[8:9], -v[6:7]
	s_andn2_saveexec_b64 s[4:5], s[10:11]
	s_cbranch_execnz .LBB0_26
	s_branch .LBB0_27
.LBB0_20:
	s_andn2_saveexec_b64 s[4:5], s[10:11]
	s_cbranch_execz .LBB0_22
.LBB0_21:
	s_mov_b32 s10, 0x6dc9c883
	s_mov_b32 s11, 0x3fe45f30
	v_mul_f64 v[4:5], |v[2:3]|, s[10:11]
	s_mov_b32 s10, 0x54442d18
	s_mov_b32 s11, 0xbff921fb
	;; [unrolled: 1-line block ×4, first 2 shown]
	v_rndne_f64_e32 v[8:9], v[4:5]
	v_fma_f64 v[4:5], v[8:9], s[10:11], |v[2:3]|
	v_mul_f64 v[6:7], v[8:9], s[12:13]
	s_mov_b32 s10, 0x252049c0
	s_mov_b32 s11, 0xb97b839a
	v_cvt_i32_f64_e32 v22, v[8:9]
	v_fma_f64 v[18:19], v[8:9], s[12:13], v[4:5]
	v_add_f64 v[14:15], v[4:5], v[6:7]
	s_mov_b32 s13, 0x3c91a626
	v_add_f64 v[16:17], v[4:5], -v[14:15]
	v_add_f64 v[14:15], v[14:15], -v[18:19]
	v_add_f64 v[4:5], v[16:17], v[6:7]
	v_fma_f64 v[6:7], v[8:9], s[12:13], v[6:7]
	v_add_f64 v[4:5], v[14:15], v[4:5]
	v_add_f64 v[4:5], v[4:5], -v[6:7]
	v_fma_f64 v[6:7], v[8:9], s[10:11], v[4:5]
	v_add_f64 v[4:5], v[18:19], v[6:7]
	v_add_f64 v[14:15], v[4:5], -v[18:19]
	v_add_f64 v[6:7], v[6:7], -v[14:15]
.LBB0_22:
	s_or_b64 exec, exec, s[4:5]
	s_mov_b32 s4, 0
	s_mov_b32 s5, 0x40140000
	v_div_scale_f64 v[8:9], s[10:11], v[0:1], v[0:1], s[4:5]
	v_mov_b32_e32 v20, 0x60895077
	v_mov_b32_e32 v21, 0x40528f30
	s_mov_b32 s20, 0x46cc5e42
	s_mov_b32 s21, 0xbda907db
	;; [unrolled: 1-line block ×12, first 2 shown]
	v_rcp_f64_e32 v[14:15], v[8:9]
	s_mov_b32 s12, 0x796cde01
	s_mov_b32 s13, 0x3ec71de3
	;; [unrolled: 1-line block ×6, first 2 shown]
	v_mul_f64 v[34:35], v[12:13], 0.5
	s_mov_b32 s15, 0xbfc55555
	s_mov_b32 s14, s28
	v_fma_f64 v[16:17], -v[8:9], v[14:15], 1.0
	v_fma_f64 v[14:15], v[14:15], v[16:17], v[14:15]
	v_fma_f64 v[16:17], -v[8:9], v[14:15], 1.0
	v_fma_f64 v[14:15], v[14:15], v[16:17], v[14:15]
	v_div_scale_f64 v[16:17], vcc, s[4:5], v[0:1], s[4:5]
	v_mul_f64 v[18:19], v[16:17], v[14:15]
	v_fma_f64 v[8:9], -v[8:9], v[18:19], v[16:17]
	v_mov_b32_e32 v16, 0x4c6c651b
	v_mov_b32_e32 v17, 0x3f48f92c
	v_div_fmas_f64 v[8:9], v[8:9], v[14:15], v[18:19]
	v_mov_b32_e32 v18, 0x13443d69
	v_mov_b32_e32 v19, 0x3f42b89b
	v_div_fixup_f64 v[14:15], v[8:9], v[0:1], s[4:5]
	s_mov_b32 s4, 0xa3fec4b6
	s_mov_b32 s5, 0x3fb2b948
	v_mul_f64 v[8:9], v[14:15], v[14:15]
	v_fma_f64 v[16:17], v[8:9], 0, v[16:17]
	v_fma_f64 v[18:19], v[8:9], 0, v[18:19]
	;; [unrolled: 1-line block ×4, first 2 shown]
	s_mov_b32 s4, 0xc21596d6
	s_mov_b32 s5, 0x3ff208fe
	v_fma_f64 v[16:17], v[8:9], v[16:17], s[4:5]
	s_mov_b32 s4, 0xf8b13a6a
	s_mov_b32 s5, 0x401472c4
	v_fma_f64 v[16:17], v[8:9], v[16:17], s[4:5]
	;; [unrolled: 3-line block ×9, first 2 shown]
	s_mov_b32 s4, 0xc66d8fd6
	s_mov_b32 s5, 0x4013edb5
	v_fma_f64 v[24:25], v[8:9], v[18:19], 1.0
	v_mov_b32_e32 v18, 0x6b70ba40
	v_mov_b32_e32 v19, 0x3faa27fa
	v_fma_f64 v[18:19], v[8:9], 0, v[18:19]
	v_fma_f64 v[18:19], v[8:9], v[18:19], s[4:5]
	s_mov_b32 s4, 0x9acf1c67
	s_mov_b32 s5, 0x4052f4b9
	v_fma_f64 v[18:19], v[8:9], v[18:19], s[4:5]
	s_mov_b32 s4, 0x47aa180d
	s_mov_b32 s5, 0x4076ec79
	;; [unrolled: 3-line block ×12, first 2 shown]
	v_fma_f64 v[20:21], v[8:9], v[20:21], s[4:5]
	v_fma_f64 v[8:9], v[8:9], v[16:17], 1.0
	v_div_scale_f64 v[16:17], s[4:5], v[24:25], v[24:25], v[8:9]
	s_mov_b32 s4, 0x9037ab78
	s_mov_b32 s5, 0x3e21eeb6
	v_rcp_f64_e32 v[26:27], v[16:17]
	v_fma_f64 v[28:29], -v[16:17], v[26:27], 1.0
	v_fma_f64 v[26:27], v[26:27], v[28:29], v[26:27]
	v_fma_f64 v[28:29], -v[16:17], v[26:27], 1.0
	v_fma_f64 v[26:27], v[26:27], v[28:29], v[26:27]
	v_div_scale_f64 v[28:29], vcc, v[8:9], v[24:25], v[8:9]
	v_mul_f64 v[30:31], v[28:29], v[26:27]
	v_fma_f64 v[16:17], -v[16:17], v[30:31], v[28:29]
	s_nop 1
	v_div_fmas_f64 v[16:17], v[16:17], v[26:27], v[30:31]
	v_mov_b32_e32 v31, s5
	v_mov_b32_e32 v30, s4
	s_mov_b32 s4, 0xb42fdfa7
	s_mov_b32 s5, 0xbe5ae600
	v_div_fixup_f64 v[8:9], v[16:17], v[24:25], v[8:9]
	v_mul_f64 v[24:25], v[10:11], v[10:11]
	v_mul_f64 v[16:17], v[24:25], 0.5
	v_fma_f64 v[32:33], v[24:25], s[20:21], v[30:31]
	v_add_f64 v[26:27], -v[16:17], 1.0
	v_fma_f64 v[32:33], v[24:25], v[32:33], s[22:23]
	v_add_f64 v[28:29], -v[26:27], 1.0
	v_fma_f64 v[32:33], v[24:25], v[32:33], s[24:25]
	v_add_f64 v[16:17], v[28:29], -v[16:17]
	v_fma_f64 v[32:33], v[24:25], v[32:33], s[26:27]
	v_mul_f64 v[28:29], v[24:25], v[24:25]
	v_fma_f64 v[16:17], v[10:11], -v[12:13], v[16:17]
	v_fma_f64 v[32:33], v[24:25], v[32:33], s[28:29]
	v_fma_f64 v[16:17], v[28:29], v[32:33], v[16:17]
	v_mul_f64 v[32:33], v[10:11], -v[24:25]
	v_add_f64 v[26:27], v[26:27], v[16:17]
	v_mov_b32_e32 v17, s5
	v_mov_b32_e32 v16, s4
	v_fma_f64 v[28:29], v[24:25], s[10:11], v[16:17]
	s_movk_i32 s4, 0x1f8
	v_cmp_class_f64_e64 s[4:5], v[2:3], s4
	v_mov_b32_e32 v2, 0x7ff80000
	v_fma_f64 v[28:29], v[24:25], v[28:29], s[12:13]
	v_fma_f64 v[28:29], v[24:25], v[28:29], s[16:17]
	;; [unrolled: 1-line block ×4, first 2 shown]
	v_fma_f64 v[12:13], v[24:25], v[28:29], -v[12:13]
	v_fma_f64 v[12:13], v[32:33], s[14:15], v[12:13]
	v_add_f64 v[10:11], v[10:11], -v[12:13]
	v_and_b32_e32 v12, 1, v23
	v_cmp_eq_u32_e32 vcc, 0, v12
	v_lshlrev_b32_e32 v12, 30, v23
	v_and_b32_e32 v12, 0x80000000, v12
	v_xor_b32_e32 v11, 0x80000000, v11
	v_cndmask_b32_e32 v11, v11, v27, vcc
	v_xor_b32_e32 v11, v11, v12
	v_div_scale_f64 v[12:13], s[40:41], v[20:21], v[20:21], v[18:19]
	v_cndmask_b32_e32 v10, v10, v26, vcc
	v_cndmask_b32_e64 v11, v2, v11, s[4:5]
	v_cndmask_b32_e64 v10, 0, v10, s[4:5]
	v_rcp_f64_e32 v[23:24], v[12:13]
	v_fma_f64 v[25:26], -v[12:13], v[23:24], 1.0
	v_fma_f64 v[23:24], v[23:24], v[25:26], v[23:24]
	v_fma_f64 v[25:26], -v[12:13], v[23:24], 1.0
	v_fma_f64 v[23:24], v[23:24], v[25:26], v[23:24]
	v_div_scale_f64 v[25:26], vcc, v[18:19], v[20:21], v[18:19]
	v_mul_f64 v[27:28], v[25:26], v[23:24]
	v_fma_f64 v[12:13], -v[12:13], v[27:28], v[25:26]
	s_nop 1
	v_div_fmas_f64 v[12:13], v[12:13], v[23:24], v[27:28]
	v_div_fixup_f64 v[12:13], v[12:13], v[20:21], v[18:19]
	v_mul_f64 v[12:13], v[14:15], v[12:13]
	v_mul_f64 v[14:15], v[4:5], v[4:5]
	v_mul_f64 v[18:19], v[14:15], 0.5
	v_fma_f64 v[25:26], v[14:15], s[20:21], v[30:31]
	v_fma_f64 v[16:17], v[14:15], s[10:11], v[16:17]
	v_add_f64 v[20:21], -v[18:19], 1.0
	v_fma_f64 v[25:26], v[14:15], v[25:26], s[22:23]
	v_fma_f64 v[16:17], v[14:15], v[16:17], s[12:13]
	v_add_f64 v[23:24], -v[20:21], 1.0
	v_fma_f64 v[25:26], v[14:15], v[25:26], s[24:25]
	v_fma_f64 v[16:17], v[14:15], v[16:17], s[16:17]
	v_add_f64 v[18:19], v[23:24], -v[18:19]
	v_fma_f64 v[25:26], v[14:15], v[25:26], s[26:27]
	v_mul_f64 v[23:24], v[14:15], v[14:15]
	v_fma_f64 v[16:17], v[14:15], v[16:17], s[18:19]
	v_fma_f64 v[18:19], v[4:5], -v[6:7], v[18:19]
	v_fma_f64 v[25:26], v[14:15], v[25:26], s[28:29]
	v_fma_f64 v[18:19], v[23:24], v[25:26], v[18:19]
	v_mul_f64 v[23:24], v[6:7], 0.5
	v_add_f64 v[18:19], v[20:21], v[18:19]
	v_mul_f64 v[20:21], v[4:5], -v[14:15]
	v_fma_f64 v[16:17], v[20:21], v[16:17], v[23:24]
	v_fma_f64 v[6:7], v[14:15], v[16:17], -v[6:7]
	v_fma_f64 v[6:7], v[20:21], s[14:15], v[6:7]
	v_add_f64 v[4:5], v[4:5], -v[6:7]
	v_and_b32_e32 v6, 1, v22
	v_cmp_eq_u32_e32 vcc, 0, v6
	v_lshlrev_b32_e32 v6, 30, v22
	v_xor_b32_e32 v3, v6, v3
	v_and_b32_e32 v3, 0x80000000, v3
	v_cndmask_b32_e32 v5, v19, v5, vcc
	v_cndmask_b32_e32 v4, v18, v4, vcc
	v_xor_b32_e32 v5, v5, v3
	v_cndmask_b32_e64 v3, 0, v4, s[4:5]
	v_cndmask_b32_e64 v4, v2, v5, s[4:5]
	v_mul_f64 v[2:3], v[12:13], v[3:4]
	s_mov_b32 s4, 0x33d43651
	s_mov_b32 s5, 0x3fe98845
	v_mov_b32_e32 v4, 0x100
	v_fma_f64 v[2:3], v[8:9], v[10:11], -v[2:3]
	v_mul_f64 v[2:3], v[2:3], s[4:5]
	s_mov_b32 s4, 0
	s_brev_b32 s5, 8
	v_cmp_gt_f64_e32 vcc, s[4:5], v[0:1]
	v_cndmask_b32_e32 v4, 0, v4, vcc
	v_ldexp_f64 v[0:1], v[0:1], v4
	v_rsq_f64_e32 v[4:5], v[0:1]
	v_mul_f64 v[6:7], v[0:1], v[4:5]
	v_mul_f64 v[4:5], v[4:5], 0.5
	v_fma_f64 v[8:9], -v[4:5], v[6:7], 0.5
	v_fma_f64 v[6:7], v[6:7], v[8:9], v[6:7]
	v_fma_f64 v[4:5], v[4:5], v[8:9], v[4:5]
	v_fma_f64 v[10:11], -v[6:7], v[6:7], v[0:1]
	v_fma_f64 v[6:7], v[10:11], v[4:5], v[6:7]
	v_fma_f64 v[8:9], -v[6:7], v[6:7], v[0:1]
	v_fma_f64 v[4:5], v[8:9], v[4:5], v[6:7]
	v_mov_b32_e32 v6, 0xffffff80
	v_cndmask_b32_e32 v6, 0, v6, vcc
	v_ldexp_f64 v[4:5], v[4:5], v6
	v_mov_b32_e32 v6, 0x260
	v_cmp_class_f64_e32 vcc, v[0:1], v6
	v_cndmask_b32_e32 v1, v5, v1, vcc
	v_cndmask_b32_e32 v0, v4, v0, vcc
	v_div_scale_f64 v[4:5], s[4:5], v[0:1], v[0:1], v[2:3]
	v_rcp_f64_e32 v[6:7], v[4:5]
	v_fma_f64 v[8:9], -v[4:5], v[6:7], 1.0
	v_fma_f64 v[6:7], v[6:7], v[8:9], v[6:7]
	v_fma_f64 v[8:9], -v[4:5], v[6:7], 1.0
	v_fma_f64 v[6:7], v[6:7], v[8:9], v[6:7]
	v_div_scale_f64 v[8:9], vcc, v[2:3], v[0:1], v[2:3]
	v_mul_f64 v[10:11], v[8:9], v[6:7]
	v_fma_f64 v[4:5], -v[4:5], v[10:11], v[8:9]
	s_nop 1
	v_div_fmas_f64 v[4:5], v[4:5], v[6:7], v[10:11]
	v_div_fixup_f64 v[2:3], v[4:5], v[0:1], v[2:3]
.LBB0_23:
	s_or_b64 exec, exec, s[8:9]
                                        ; implicit-def: $vgpr0_vgpr1
	s_andn2_saveexec_b64 s[6:7], s[6:7]
	s_cbranch_execnz .LBB0_7
.LBB0_24:
	s_or_b64 exec, exec, s[6:7]
	v_mov_b32_e32 v0, v2
	v_mov_b32_e32 v1, v3
	s_setpc_b64 s[30:31]
.LBB0_25:
	s_andn2_saveexec_b64 s[4:5], s[10:11]
	s_cbranch_execz .LBB0_27
.LBB0_26:
	s_mov_b32 s10, 0x6dc9c883
	s_mov_b32 s11, 0x3fe45f30
	v_mul_f64 v[4:5], |v[2:3]|, s[10:11]
	s_mov_b32 s10, 0x54442d18
	s_mov_b32 s11, 0xbff921fb
	;; [unrolled: 1-line block ×4, first 2 shown]
	v_rndne_f64_e32 v[8:9], v[4:5]
	v_fma_f64 v[4:5], v[8:9], s[10:11], |v[2:3]|
	v_mul_f64 v[6:7], v[8:9], s[12:13]
	s_mov_b32 s10, 0x252049c0
	s_mov_b32 s11, 0xb97b839a
	v_cvt_i32_f64_e32 v18, v[8:9]
	v_fma_f64 v[20:21], v[8:9], s[12:13], v[4:5]
	v_add_f64 v[14:15], v[4:5], v[6:7]
	s_mov_b32 s13, 0x3c91a626
	v_add_f64 v[16:17], v[4:5], -v[14:15]
	v_add_f64 v[14:15], v[14:15], -v[20:21]
	v_add_f64 v[4:5], v[16:17], v[6:7]
	v_fma_f64 v[6:7], v[8:9], s[12:13], v[6:7]
	v_add_f64 v[4:5], v[14:15], v[4:5]
	v_add_f64 v[4:5], v[4:5], -v[6:7]
	v_fma_f64 v[6:7], v[8:9], s[10:11], v[4:5]
	v_add_f64 v[4:5], v[20:21], v[6:7]
	v_add_f64 v[14:15], v[4:5], -v[20:21]
	v_add_f64 v[6:7], v[6:7], -v[14:15]
.LBB0_27:
	s_or_b64 exec, exec, s[4:5]
	s_mov_b32 s4, 0
	s_mov_b32 s5, 0xc0140000
	v_div_scale_f64 v[8:9], s[10:11], v[0:1], v[0:1], s[4:5]
	v_mov_b32_e32 v22, 0x60895077
	v_mov_b32_e32 v23, 0x40528f30
	s_mov_b32 s20, 0x46cc5e42
	s_mov_b32 s21, 0xbda907db
	;; [unrolled: 1-line block ×12, first 2 shown]
	v_rcp_f64_e32 v[14:15], v[8:9]
	s_mov_b32 s12, 0x796cde01
	s_mov_b32 s13, 0x3ec71de3
	;; [unrolled: 1-line block ×6, first 2 shown]
	v_mul_f64 v[32:33], v[12:13], 0.5
	s_mov_b32 s17, 0xbfc55555
	s_mov_b32 s16, s28
	;; [unrolled: 1-line block ×4, first 2 shown]
	v_fma_f64 v[16:17], -v[8:9], v[14:15], 1.0
	v_fma_f64 v[14:15], v[14:15], v[16:17], v[14:15]
	v_fma_f64 v[16:17], -v[8:9], v[14:15], 1.0
	v_fma_f64 v[14:15], v[14:15], v[16:17], v[14:15]
	v_div_scale_f64 v[16:17], vcc, s[4:5], v[0:1], s[4:5]
	v_mul_f64 v[20:21], v[16:17], v[14:15]
	v_fma_f64 v[8:9], -v[8:9], v[20:21], v[16:17]
	v_mov_b32_e32 v16, 0x13443d69
	v_mov_b32_e32 v17, 0x3f42b89b
	v_div_fmas_f64 v[8:9], v[8:9], v[14:15], v[20:21]
	v_mov_b32_e32 v14, 0x4c6c651b
	v_mov_b32_e32 v15, 0x3f48f92c
	v_mov_b32_e32 v20, 0x6b70ba40
	v_mov_b32_e32 v21, 0x3faa27fa
	v_div_fixup_f64 v[8:9], v[8:9], v[0:1], s[4:5]
	s_mov_b32 s4, 0xa3fec4b6
	s_mov_b32 s5, 0x3fb2b948
	v_mul_f64 v[8:9], v[8:9], v[8:9]
	v_fma_f64 v[14:15], v[8:9], 0, v[14:15]
	v_fma_f64 v[16:17], v[8:9], 0, v[16:17]
	;; [unrolled: 1-line block ×5, first 2 shown]
	s_mov_b32 s4, 0xc21596d6
	s_mov_b32 s5, 0x3ff208fe
	v_fma_f64 v[14:15], v[8:9], v[14:15], s[4:5]
	s_mov_b32 s4, 0xf8b13a6a
	s_mov_b32 s5, 0x401472c4
	v_fma_f64 v[14:15], v[8:9], v[14:15], s[4:5]
	s_mov_b32 s4, 0x8b5d2f16
	s_mov_b32 s5, 0x4020d91c
	v_fma_f64 v[14:15], v[8:9], v[14:15], s[4:5]
	s_mov_b32 s4, 0x142f81a2
	s_mov_b32 s5, 0x4014dbaa
	v_fma_f64 v[14:15], v[8:9], v[14:15], s[4:5]
	s_mov_b32 s4, 0x5948aa83
	s_mov_b32 s5, 0x3fb19fdd
	v_fma_f64 v[16:17], v[8:9], v[16:17], s[4:5]
	s_mov_b32 s4, 0xb850eed6
	s_mov_b32 s5, 0x3ff1aea9
	v_fma_f64 v[16:17], v[8:9], v[16:17], s[4:5]
	s_mov_b32 s4, 0xf7d251a1
	s_mov_b32 s5, 0x40144ba2
	v_fma_f64 v[16:17], v[8:9], v[16:17], s[4:5]
	s_mov_b32 s4, 0xdda2fd65
	s_mov_b32 s5, 0x4020ccb9
	v_fma_f64 v[16:17], v[8:9], v[16:17], s[4:5]
	s_mov_b32 s4, 0x4762b4d9
	s_mov_b32 s5, 0x4014d6dd
	v_fma_f64 v[16:17], v[8:9], v[16:17], s[4:5]
	s_mov_b32 s4, 0xc66d8fd6
	s_mov_b32 s5, 0x4013edb5
	v_fma_f64 v[20:21], v[8:9], v[20:21], s[4:5]
	s_mov_b32 s4, 0x9acf1c67
	s_mov_b32 s5, 0x4052f4b9
	v_fma_f64 v[16:17], v[8:9], v[16:17], 1.0
	v_fma_f64 v[20:21], v[8:9], v[20:21], s[4:5]
	s_mov_b32 s4, 0x47aa180d
	s_mov_b32 s5, 0x4076ec79
	v_fma_f64 v[20:21], v[8:9], v[20:21], s[4:5]
	s_mov_b32 s4, 0xb66f6e50
	s_mov_b32 s5, 0x408636d9
	;; [unrolled: 3-line block ×11, first 2 shown]
	v_fma_f64 v[22:23], v[8:9], v[22:23], s[4:5]
	v_fma_f64 v[8:9], v[8:9], v[14:15], 1.0
	v_div_scale_f64 v[14:15], s[4:5], v[16:17], v[16:17], v[8:9]
	s_mov_b32 s4, 0x9037ab78
	s_mov_b32 s5, 0x3e21eeb6
	v_rcp_f64_e32 v[24:25], v[14:15]
	v_fma_f64 v[26:27], -v[14:15], v[24:25], 1.0
	v_fma_f64 v[24:25], v[24:25], v[26:27], v[24:25]
	v_fma_f64 v[26:27], -v[14:15], v[24:25], 1.0
	v_fma_f64 v[24:25], v[24:25], v[26:27], v[24:25]
	v_div_scale_f64 v[26:27], vcc, v[8:9], v[16:17], v[8:9]
	v_mul_f64 v[28:29], v[26:27], v[24:25]
	v_fma_f64 v[14:15], -v[14:15], v[28:29], v[26:27]
	s_nop 1
	v_div_fmas_f64 v[14:15], v[14:15], v[24:25], v[28:29]
	v_mov_b32_e32 v29, s5
	v_mov_b32_e32 v28, s4
	s_mov_b32 s4, 0xb42fdfa7
	s_mov_b32 s5, 0xbe5ae600
	v_div_fixup_f64 v[8:9], v[14:15], v[16:17], v[8:9]
	v_mul_f64 v[16:17], v[10:11], v[10:11]
	v_mul_f64 v[14:15], v[16:17], 0.5
	v_fma_f64 v[30:31], v[16:17], s[20:21], v[28:29]
	v_add_f64 v[24:25], -v[14:15], 1.0
	v_fma_f64 v[30:31], v[16:17], v[30:31], s[22:23]
	v_add_f64 v[26:27], -v[24:25], 1.0
	v_fma_f64 v[30:31], v[16:17], v[30:31], s[24:25]
	v_add_f64 v[14:15], v[26:27], -v[14:15]
	v_fma_f64 v[30:31], v[16:17], v[30:31], s[26:27]
	v_mul_f64 v[26:27], v[16:17], v[16:17]
	v_fma_f64 v[14:15], v[10:11], -v[12:13], v[14:15]
	v_fma_f64 v[30:31], v[16:17], v[30:31], s[28:29]
	v_fma_f64 v[14:15], v[26:27], v[30:31], v[14:15]
	v_mul_f64 v[30:31], v[10:11], -v[16:17]
	v_add_f64 v[24:25], v[24:25], v[14:15]
	v_mov_b32_e32 v15, s5
	v_mov_b32_e32 v14, s4
	v_fma_f64 v[26:27], v[16:17], s[10:11], v[14:15]
	s_movk_i32 s4, 0x1f8
	v_cmp_class_f64_e64 s[4:5], v[2:3], s4
	v_and_b32_e32 v2, 1, v18
	v_fma_f64 v[26:27], v[16:17], v[26:27], s[12:13]
	v_fma_f64 v[26:27], v[16:17], v[26:27], s[14:15]
	;; [unrolled: 1-line block ×4, first 2 shown]
	v_mov_b32_e32 v32, 0x7ff80000
	v_fma_f64 v[12:13], v[16:17], v[26:27], -v[12:13]
	v_fma_f64 v[12:13], v[30:31], s[16:17], v[12:13]
	v_add_f64 v[10:11], v[10:11], -v[12:13]
	v_and_b32_e32 v12, 1, v19
	v_cmp_eq_u32_e32 vcc, 0, v12
	v_lshlrev_b32_e32 v12, 30, v19
	v_and_b32_e32 v12, 0x80000000, v12
	v_xor_b32_e32 v11, 0x80000000, v11
	v_cndmask_b32_e32 v11, v11, v25, vcc
	v_xor_b32_e32 v11, v11, v12
	v_div_scale_f64 v[12:13], s[42:43], v[0:1], v[0:1], s[40:41]
	v_cndmask_b32_e32 v10, v10, v24, vcc
	v_cndmask_b32_e64 v10, 0, v10, s[4:5]
	v_cndmask_b32_e64 v11, v32, v11, s[4:5]
	v_rcp_f64_e32 v[16:17], v[12:13]
	v_fma_f64 v[24:25], -v[12:13], v[16:17], 1.0
	v_fma_f64 v[16:17], v[16:17], v[24:25], v[16:17]
	v_fma_f64 v[24:25], -v[12:13], v[16:17], 1.0
	v_fma_f64 v[16:17], v[16:17], v[24:25], v[16:17]
	v_div_scale_f64 v[24:25], vcc, s[40:41], v[0:1], s[40:41]
	v_mul_f64 v[26:27], v[24:25], v[16:17]
	v_fma_f64 v[12:13], -v[12:13], v[26:27], v[24:25]
	s_nop 1
	v_div_fmas_f64 v[12:13], v[12:13], v[16:17], v[26:27]
	v_div_fixup_f64 v[12:13], v[12:13], v[0:1], s[40:41]
	v_div_scale_f64 v[16:17], s[40:41], v[22:23], v[22:23], v[20:21]
	v_rcp_f64_e32 v[24:25], v[16:17]
	v_fma_f64 v[26:27], -v[16:17], v[24:25], 1.0
	v_fma_f64 v[24:25], v[24:25], v[26:27], v[24:25]
	v_fma_f64 v[26:27], -v[16:17], v[24:25], 1.0
	v_fma_f64 v[24:25], v[24:25], v[26:27], v[24:25]
	v_div_scale_f64 v[26:27], vcc, v[20:21], v[22:23], v[20:21]
	v_mul_f64 v[30:31], v[26:27], v[24:25]
	v_fma_f64 v[16:17], -v[16:17], v[30:31], v[26:27]
	s_nop 1
	v_div_fmas_f64 v[16:17], v[16:17], v[24:25], v[30:31]
	v_cmp_eq_u32_e32 vcc, 0, v2
	v_div_fixup_f64 v[16:17], v[16:17], v[22:23], v[20:21]
	v_mul_f64 v[12:13], v[12:13], v[16:17]
	v_mul_f64 v[16:17], v[4:5], v[4:5]
	v_mul_f64 v[19:20], v[16:17], 0.5
	v_fma_f64 v[25:26], v[16:17], s[20:21], v[28:29]
	v_fma_f64 v[14:15], v[16:17], s[10:11], v[14:15]
	v_add_f64 v[21:22], -v[19:20], 1.0
	v_fma_f64 v[25:26], v[16:17], v[25:26], s[22:23]
	v_fma_f64 v[14:15], v[16:17], v[14:15], s[12:13]
	v_add_f64 v[23:24], -v[21:22], 1.0
	v_fma_f64 v[25:26], v[16:17], v[25:26], s[24:25]
	v_fma_f64 v[14:15], v[16:17], v[14:15], s[14:15]
	v_add_f64 v[19:20], v[23:24], -v[19:20]
	v_fma_f64 v[25:26], v[16:17], v[25:26], s[26:27]
	v_mul_f64 v[23:24], v[16:17], v[16:17]
	v_fma_f64 v[14:15], v[16:17], v[14:15], s[18:19]
	v_fma_f64 v[19:20], v[4:5], -v[6:7], v[19:20]
	v_fma_f64 v[25:26], v[16:17], v[25:26], s[28:29]
	v_fma_f64 v[19:20], v[23:24], v[25:26], v[19:20]
	v_mul_f64 v[23:24], v[6:7], 0.5
	v_add_f64 v[19:20], v[21:22], v[19:20]
	v_mul_f64 v[21:22], v[4:5], -v[16:17]
	v_fma_f64 v[14:15], v[21:22], v[14:15], v[23:24]
	v_fma_f64 v[6:7], v[16:17], v[14:15], -v[6:7]
	v_fma_f64 v[6:7], v[21:22], s[16:17], v[6:7]
	v_add_f64 v[4:5], v[4:5], -v[6:7]
	v_cndmask_b32_e32 v2, v19, v4, vcc
	v_cndmask_b32_e32 v4, v20, v5, vcc
	v_lshlrev_b32_e32 v5, 30, v18
	v_xor_b32_e32 v3, v5, v3
	v_and_b32_e32 v3, 0x80000000, v3
	v_xor_b32_e32 v3, v4, v3
	v_cndmask_b32_e64 v2, 0, v2, s[4:5]
	v_cndmask_b32_e64 v3, v32, v3, s[4:5]
	v_mul_f64 v[2:3], v[12:13], v[2:3]
	s_mov_b32 s4, 0x33d43651
	s_mov_b32 s5, 0x3fe98845
	v_mov_b32_e32 v4, 0x100
	v_fma_f64 v[2:3], v[8:9], v[10:11], v[2:3]
	v_mul_f64 v[2:3], v[2:3], s[4:5]
	s_mov_b32 s4, 0
	s_brev_b32 s5, 9
	v_cmp_lt_f64_e32 vcc, s[4:5], v[0:1]
	v_cndmask_b32_e32 v4, 0, v4, vcc
	v_ldexp_f64 v[0:1], -v[0:1], v4
	v_rsq_f64_e32 v[4:5], v[0:1]
	v_mul_f64 v[6:7], v[0:1], v[4:5]
	v_mul_f64 v[4:5], v[4:5], 0.5
	v_fma_f64 v[8:9], -v[4:5], v[6:7], 0.5
	v_fma_f64 v[6:7], v[6:7], v[8:9], v[6:7]
	v_fma_f64 v[4:5], v[4:5], v[8:9], v[4:5]
	v_fma_f64 v[10:11], -v[6:7], v[6:7], v[0:1]
	v_fma_f64 v[6:7], v[10:11], v[4:5], v[6:7]
	v_fma_f64 v[8:9], -v[6:7], v[6:7], v[0:1]
	v_fma_f64 v[4:5], v[8:9], v[4:5], v[6:7]
	v_mov_b32_e32 v6, 0xffffff80
	v_cndmask_b32_e32 v6, 0, v6, vcc
	v_ldexp_f64 v[4:5], v[4:5], v6
	v_mov_b32_e32 v6, 0x260
	v_cmp_class_f64_e32 vcc, v[0:1], v6
	v_cndmask_b32_e32 v1, v5, v1, vcc
	v_cndmask_b32_e32 v0, v4, v0, vcc
	v_div_scale_f64 v[4:5], s[4:5], v[0:1], v[0:1], v[2:3]
	v_rcp_f64_e32 v[6:7], v[4:5]
	v_fma_f64 v[8:9], -v[4:5], v[6:7], 1.0
	v_fma_f64 v[6:7], v[6:7], v[8:9], v[6:7]
	v_fma_f64 v[8:9], -v[4:5], v[6:7], 1.0
	v_fma_f64 v[6:7], v[6:7], v[8:9], v[6:7]
	v_div_scale_f64 v[8:9], vcc, v[2:3], v[0:1], v[2:3]
	v_mul_f64 v[10:11], v[8:9], v[6:7]
	v_fma_f64 v[4:5], -v[4:5], v[10:11], v[8:9]
	s_nop 1
	v_div_fmas_f64 v[4:5], v[4:5], v[6:7], v[10:11]
	v_div_fixup_f64 v[2:3], v[4:5], v[0:1], v[2:3]
.LBB0_28:
	s_or_b64 exec, exec, s[8:9]
	v_xor_b32_e32 v3, 0x80000000, v3
	s_or_b64 exec, exec, s[6:7]
	v_mov_b32_e32 v0, v2
	v_mov_b32_e32 v1, v3
	s_setpc_b64 s[30:31]
.Lfunc_end0:
	.size	_ZZZZN2at6native12_GLOBAL__N_121bessel_j1_kernel_cudaERNS_18TensorIteratorBaseEENKUlvE_clEvENKUlvE_clEvENKUldE_clEd, .Lfunc_end0-_ZZZZN2at6native12_GLOBAL__N_121bessel_j1_kernel_cudaERNS_18TensorIteratorBaseEENKUlvE_clEvENKUlvE_clEvENKUldE_clEd
                                        ; -- End function
	.set .L_ZZZZN2at6native12_GLOBAL__N_121bessel_j1_kernel_cudaERNS_18TensorIteratorBaseEENKUlvE_clEvENKUlvE_clEvENKUldE_clEd.num_vgpr, 38
	.set .L_ZZZZN2at6native12_GLOBAL__N_121bessel_j1_kernel_cudaERNS_18TensorIteratorBaseEENKUlvE_clEvENKUlvE_clEvENKUldE_clEd.num_agpr, 0
	.set .L_ZZZZN2at6native12_GLOBAL__N_121bessel_j1_kernel_cudaERNS_18TensorIteratorBaseEENKUlvE_clEvENKUlvE_clEvENKUldE_clEd.numbered_sgpr, 44
	.set .L_ZZZZN2at6native12_GLOBAL__N_121bessel_j1_kernel_cudaERNS_18TensorIteratorBaseEENKUlvE_clEvENKUlvE_clEvENKUldE_clEd.num_named_barrier, 0
	.set .L_ZZZZN2at6native12_GLOBAL__N_121bessel_j1_kernel_cudaERNS_18TensorIteratorBaseEENKUlvE_clEvENKUlvE_clEvENKUldE_clEd.private_seg_size, 0
	.set .L_ZZZZN2at6native12_GLOBAL__N_121bessel_j1_kernel_cudaERNS_18TensorIteratorBaseEENKUlvE_clEvENKUlvE_clEvENKUldE_clEd.uses_vcc, 1
	.set .L_ZZZZN2at6native12_GLOBAL__N_121bessel_j1_kernel_cudaERNS_18TensorIteratorBaseEENKUlvE_clEvENKUlvE_clEvENKUldE_clEd.uses_flat_scratch, 0
	.set .L_ZZZZN2at6native12_GLOBAL__N_121bessel_j1_kernel_cudaERNS_18TensorIteratorBaseEENKUlvE_clEvENKUlvE_clEvENKUldE_clEd.has_dyn_sized_stack, 0
	.set .L_ZZZZN2at6native12_GLOBAL__N_121bessel_j1_kernel_cudaERNS_18TensorIteratorBaseEENKUlvE_clEvENKUlvE_clEvENKUldE_clEd.has_recursion, 0
	.set .L_ZZZZN2at6native12_GLOBAL__N_121bessel_j1_kernel_cudaERNS_18TensorIteratorBaseEENKUlvE_clEvENKUlvE_clEvENKUldE_clEd.has_indirect_call, 0
	.section	.AMDGPU.csdata,"",@progbits
; Function info:
; codeLenInByte = 8512
; TotalNumSgprs: 48
; NumVgprs: 38
; ScratchSize: 0
; MemoryBound: 0
	.section	.text._ZN2at6native29vectorized_elementwise_kernelILi16EZZZNS0_12_GLOBAL__N_121bessel_j1_kernel_cudaERNS_18TensorIteratorBaseEENKUlvE_clEvENKUlvE_clEvEUldE_St5arrayIPcLm2EEEEviT0_T1_,"axG",@progbits,_ZN2at6native29vectorized_elementwise_kernelILi16EZZZNS0_12_GLOBAL__N_121bessel_j1_kernel_cudaERNS_18TensorIteratorBaseEENKUlvE_clEvENKUlvE_clEvEUldE_St5arrayIPcLm2EEEEviT0_T1_,comdat
	.globl	_ZN2at6native29vectorized_elementwise_kernelILi16EZZZNS0_12_GLOBAL__N_121bessel_j1_kernel_cudaERNS_18TensorIteratorBaseEENKUlvE_clEvENKUlvE_clEvEUldE_St5arrayIPcLm2EEEEviT0_T1_ ; -- Begin function _ZN2at6native29vectorized_elementwise_kernelILi16EZZZNS0_12_GLOBAL__N_121bessel_j1_kernel_cudaERNS_18TensorIteratorBaseEENKUlvE_clEvENKUlvE_clEvEUldE_St5arrayIPcLm2EEEEviT0_T1_
	.p2align	8
	.type	_ZN2at6native29vectorized_elementwise_kernelILi16EZZZNS0_12_GLOBAL__N_121bessel_j1_kernel_cudaERNS_18TensorIteratorBaseEENKUlvE_clEvENKUlvE_clEvEUldE_St5arrayIPcLm2EEEEviT0_T1_,@function
_ZN2at6native29vectorized_elementwise_kernelILi16EZZZNS0_12_GLOBAL__N_121bessel_j1_kernel_cudaERNS_18TensorIteratorBaseEENKUlvE_clEvENKUlvE_clEvEUldE_St5arrayIPcLm2EEEEviT0_T1_: ; @_ZN2at6native29vectorized_elementwise_kernelILi16EZZZNS0_12_GLOBAL__N_121bessel_j1_kernel_cudaERNS_18TensorIteratorBaseEENKUlvE_clEvENKUlvE_clEvEUldE_St5arrayIPcLm2EEEEviT0_T1_
; %bb.0:
	s_add_u32 s0, s0, s7
	s_load_dword s7, s[4:5], 0x0
	s_load_dwordx4 s[36:39], s[4:5], 0x8
	s_addc_u32 s1, s1, 0
	s_lshl_b32 s44, s6, 10
	v_mov_b32_e32 v44, v0
	s_waitcnt lgkmcnt(0)
	s_sub_i32 s33, s7, s44
	s_cmpk_gt_i32 s33, 0x3ff
	s_mov_b64 s[4:5], -1
	s_mov_b32 s32, 0
	s_cbranch_scc0 .LBB1_2
; %bb.1:
	s_ashr_i32 s45, s44, 31
	s_lshl_b64 s[34:35], s[44:45], 3
	s_add_u32 s4, s38, s34
	s_addc_u32 s5, s39, s35
	v_lshlrev_b32_e32 v42, 5, v44
	global_load_dwordx4 v[38:41], v42, s[4:5]
	global_load_dwordx4 v[45:48], v42, s[4:5] offset:16
	s_getpc_b64 s[46:47]
	s_add_u32 s46, s46, _ZZZZN2at6native12_GLOBAL__N_121bessel_j1_kernel_cudaERNS_18TensorIteratorBaseEENKUlvE_clEvENKUlvE_clEvENKUldE_clEd@rel32@lo+4
	s_addc_u32 s47, s47, _ZZZZN2at6native12_GLOBAL__N_121bessel_j1_kernel_cudaERNS_18TensorIteratorBaseEENKUlvE_clEvENKUlvE_clEvENKUldE_clEd@rel32@hi+12
	s_waitcnt vmcnt(1)
	v_mov_b32_e32 v0, v38
	v_mov_b32_e32 v1, v39
	s_swappc_b64 s[30:31], s[46:47]
	v_mov_b32_e32 v38, v0
	v_mov_b32_e32 v39, v1
	v_mov_b32_e32 v0, v40
	v_mov_b32_e32 v1, v41
	s_swappc_b64 s[30:31], s[46:47]
	v_mov_b32_e32 v40, v0
	v_mov_b32_e32 v41, v1
	;; [unrolled: 5-line block ×3, first 2 shown]
	v_mov_b32_e32 v0, v47
	v_mov_b32_e32 v1, v48
	s_swappc_b64 s[30:31], s[46:47]
	s_add_u32 s4, s36, s34
	s_addc_u32 s5, s37, s35
	v_mov_b32_e32 v47, v0
	v_mov_b32_e32 v48, v1
	global_store_dwordx4 v42, v[38:41], s[4:5]
	global_store_dwordx4 v42, v[45:48], s[4:5] offset:16
	s_mov_b64 s[4:5], 0
.LBB1_2:
	s_andn2_b64 vcc, exec, s[4:5]
	s_cbranch_vccnz .LBB1_23
; %bb.3:
	v_mov_b32_e32 v38, 0
	v_mov_b32_e32 v0, 0
	v_cmp_gt_i32_e64 s[34:35], s33, v44
	v_mov_b32_e32 v39, 0
	v_or_b32_e32 v53, s44, v44
	v_mov_b32_e32 v1, 0
	v_mov_b32_e32 v2, v44
	s_and_saveexec_b64 s[4:5], s[34:35]
	s_cbranch_execz .LBB1_5
; %bb.4:
	v_mov_b32_e32 v54, 0
	v_lshlrev_b64 v[0:1], 3, v[53:54]
	v_mov_b32_e32 v2, s39
	v_add_co_u32_e32 v0, vcc, s38, v0
	v_addc_co_u32_e32 v1, vcc, v2, v1, vcc
	global_load_dwordx2 v[0:1], v[0:1], off
	v_or_b32_e32 v2, 0x100, v44
.LBB1_5:
	s_or_b64 exec, exec, s[4:5]
	v_cmp_gt_i32_e32 vcc, s33, v2
	s_and_saveexec_b64 s[4:5], vcc
	s_cbranch_execz .LBB1_7
; %bb.6:
	v_add_u32_e32 v3, s44, v2
	v_mov_b32_e32 v4, 0
	v_lshlrev_b64 v[3:4], 3, v[3:4]
	v_mov_b32_e32 v5, s39
	v_add_co_u32_e32 v3, vcc, s38, v3
	v_addc_co_u32_e32 v4, vcc, v5, v4, vcc
	global_load_dwordx2 v[38:39], v[3:4], off
	v_add_u32_e32 v2, 0x100, v2
.LBB1_7:
	s_or_b64 exec, exec, s[4:5]
	v_mov_b32_e32 v40, 0
	v_mov_b32_e32 v42, 0
	v_mov_b32_e32 v41, 0
	v_mov_b32_e32 v43, 0
	v_cmp_gt_i32_e32 vcc, s33, v2
	s_and_saveexec_b64 s[4:5], vcc
	s_cbranch_execz .LBB1_9
; %bb.8:
	v_add_u32_e32 v3, s44, v2
	v_mov_b32_e32 v4, 0
	v_lshlrev_b64 v[3:4], 3, v[3:4]
	v_mov_b32_e32 v5, s39
	v_add_co_u32_e32 v3, vcc, s38, v3
	v_addc_co_u32_e32 v4, vcc, v5, v4, vcc
	global_load_dwordx2 v[42:43], v[3:4], off
	v_add_u32_e32 v2, 0x100, v2
.LBB1_9:
	s_or_b64 exec, exec, s[4:5]
	v_cmp_gt_i32_e32 vcc, s33, v2
	s_and_saveexec_b64 s[4:5], vcc
	s_cbranch_execz .LBB1_11
; %bb.10:
	v_add_u32_e32 v2, s44, v2
	v_mov_b32_e32 v3, 0
	v_lshlrev_b64 v[2:3], 3, v[2:3]
	v_mov_b32_e32 v4, s39
	v_add_co_u32_e32 v2, vcc, s38, v2
	v_addc_co_u32_e32 v3, vcc, v4, v3, vcc
	global_load_dwordx2 v[40:41], v[2:3], off
.LBB1_11:
	s_or_b64 exec, exec, s[4:5]
	v_mov_b32_e32 v45, 0
	v_mov_b32_e32 v46, v45
	;; [unrolled: 1-line block ×8, first 2 shown]
	s_and_saveexec_b64 s[38:39], s[34:35]
	s_cbranch_execz .LBB1_13
; %bb.12:
	s_getpc_b64 s[4:5]
	s_add_u32 s4, s4, _ZZZZN2at6native12_GLOBAL__N_121bessel_j1_kernel_cudaERNS_18TensorIteratorBaseEENKUlvE_clEvENKUlvE_clEvENKUldE_clEd@rel32@lo+4
	s_addc_u32 s5, s5, _ZZZZN2at6native12_GLOBAL__N_121bessel_j1_kernel_cudaERNS_18TensorIteratorBaseEENKUlvE_clEvENKUlvE_clEvENKUldE_clEd@rel32@hi+12
	s_swappc_b64 s[30:31], s[4:5]
	v_mov_b32_e32 v7, v45
	v_mov_b32_e32 v2, v45
	v_mov_b32_e32 v3, v45
	v_mov_b32_e32 v4, v45
	v_mov_b32_e32 v5, v45
	v_mov_b32_e32 v6, v45
	v_mov_b32_e32 v52, v7
	v_mov_b32_e32 v51, v6
	v_mov_b32_e32 v50, v5
	v_mov_b32_e32 v49, v4
	v_mov_b32_e32 v48, v3
	v_mov_b32_e32 v47, v2
	v_mov_b32_e32 v46, v1
	v_mov_b32_e32 v45, v0
.LBB1_13:
	s_or_b64 exec, exec, s[38:39]
	v_or_b32_e32 v55, 0x100, v44
	v_cmp_gt_i32_e32 vcc, s33, v55
	s_and_saveexec_b64 s[38:39], vcc
	s_cbranch_execz .LBB1_15
; %bb.14:
	s_getpc_b64 s[4:5]
	s_add_u32 s4, s4, _ZZZZN2at6native12_GLOBAL__N_121bessel_j1_kernel_cudaERNS_18TensorIteratorBaseEENKUlvE_clEvENKUlvE_clEvENKUldE_clEd@rel32@lo+4
	s_addc_u32 s5, s5, _ZZZZN2at6native12_GLOBAL__N_121bessel_j1_kernel_cudaERNS_18TensorIteratorBaseEENKUlvE_clEvENKUlvE_clEvENKUldE_clEd@rel32@hi+12
	s_waitcnt vmcnt(0)
	v_mov_b32_e32 v0, v38
	v_mov_b32_e32 v1, v39
	s_swappc_b64 s[30:31], s[4:5]
	v_mov_b32_e32 v47, v0
	v_mov_b32_e32 v48, v1
.LBB1_15:
	s_or_b64 exec, exec, s[38:39]
	s_waitcnt vmcnt(0)
	v_or_b32_e32 v0, 0x200, v44
	v_cmp_gt_i32_e32 vcc, s33, v0
	s_and_saveexec_b64 s[38:39], vcc
	s_cbranch_execz .LBB1_17
; %bb.16:
	s_getpc_b64 s[4:5]
	s_add_u32 s4, s4, _ZZZZN2at6native12_GLOBAL__N_121bessel_j1_kernel_cudaERNS_18TensorIteratorBaseEENKUlvE_clEvENKUlvE_clEvENKUldE_clEd@rel32@lo+4
	s_addc_u32 s5, s5, _ZZZZN2at6native12_GLOBAL__N_121bessel_j1_kernel_cudaERNS_18TensorIteratorBaseEENKUlvE_clEvENKUlvE_clEvENKUldE_clEd@rel32@hi+12
	v_mov_b32_e32 v0, v42
	v_mov_b32_e32 v1, v43
	s_swappc_b64 s[30:31], s[4:5]
	v_mov_b32_e32 v49, v0
	v_mov_b32_e32 v50, v1
.LBB1_17:
	s_or_b64 exec, exec, s[38:39]
	v_or_b32_e32 v0, 0x300, v44
	v_cmp_gt_i32_e32 vcc, s33, v0
	s_and_saveexec_b64 s[38:39], vcc
	s_cbranch_execnz .LBB1_24
; %bb.18:
	s_or_b64 exec, exec, s[38:39]
	s_and_saveexec_b64 s[4:5], s[34:35]
	s_xor_b64 s[4:5], exec, s[4:5]
	s_cbranch_execnz .LBB1_25
.LBB1_19:
	s_or_b64 exec, exec, s[4:5]
	v_cmp_gt_i32_e32 vcc, s33, v44
	s_and_saveexec_b64 s[4:5], vcc
	s_cbranch_execnz .LBB1_26
.LBB1_20:
	s_or_b64 exec, exec, s[4:5]
	v_cmp_gt_i32_e32 vcc, s33, v44
	s_and_saveexec_b64 s[4:5], vcc
	s_cbranch_execnz .LBB1_27
.LBB1_21:
	s_or_b64 exec, exec, s[4:5]
	v_cmp_gt_i32_e32 vcc, s33, v44
	s_and_saveexec_b64 s[4:5], vcc
	s_cbranch_execz .LBB1_23
.LBB1_22:
	v_add_u32_e32 v0, s44, v44
	v_mov_b32_e32 v1, 0
	v_lshlrev_b64 v[0:1], 3, v[0:1]
	v_mov_b32_e32 v2, s37
	v_add_co_u32_e32 v0, vcc, s36, v0
	v_addc_co_u32_e32 v1, vcc, v2, v1, vcc
	global_store_dwordx2 v[0:1], v[51:52], off
.LBB1_23:
	s_endpgm
.LBB1_24:
	s_getpc_b64 s[4:5]
	s_add_u32 s4, s4, _ZZZZN2at6native12_GLOBAL__N_121bessel_j1_kernel_cudaERNS_18TensorIteratorBaseEENKUlvE_clEvENKUlvE_clEvENKUldE_clEd@rel32@lo+4
	s_addc_u32 s5, s5, _ZZZZN2at6native12_GLOBAL__N_121bessel_j1_kernel_cudaERNS_18TensorIteratorBaseEENKUlvE_clEvENKUlvE_clEvENKUldE_clEd@rel32@hi+12
	v_mov_b32_e32 v0, v40
	v_mov_b32_e32 v1, v41
	s_swappc_b64 s[30:31], s[4:5]
	v_mov_b32_e32 v51, v0
	v_mov_b32_e32 v52, v1
	s_or_b64 exec, exec, s[38:39]
	s_and_saveexec_b64 s[4:5], s[34:35]
	s_xor_b64 s[4:5], exec, s[4:5]
	s_cbranch_execz .LBB1_19
.LBB1_25:
	v_mov_b32_e32 v54, 0
	v_lshlrev_b64 v[0:1], 3, v[53:54]
	v_mov_b32_e32 v2, s37
	v_add_co_u32_e32 v0, vcc, s36, v0
	v_addc_co_u32_e32 v1, vcc, v2, v1, vcc
	v_mov_b32_e32 v44, v55
	global_store_dwordx2 v[0:1], v[45:46], off
	s_or_b64 exec, exec, s[4:5]
	v_cmp_gt_i32_e32 vcc, s33, v44
	s_and_saveexec_b64 s[4:5], vcc
	s_cbranch_execz .LBB1_20
.LBB1_26:
	v_add_u32_e32 v0, s44, v44
	v_mov_b32_e32 v1, 0
	v_lshlrev_b64 v[0:1], 3, v[0:1]
	v_mov_b32_e32 v2, s37
	v_add_co_u32_e32 v0, vcc, s36, v0
	v_addc_co_u32_e32 v1, vcc, v2, v1, vcc
	v_add_u32_e32 v44, 0x100, v44
	global_store_dwordx2 v[0:1], v[47:48], off
	s_or_b64 exec, exec, s[4:5]
	v_cmp_gt_i32_e32 vcc, s33, v44
	s_and_saveexec_b64 s[4:5], vcc
	s_cbranch_execz .LBB1_21
.LBB1_27:
	v_add_u32_e32 v0, s44, v44
	v_mov_b32_e32 v1, 0
	v_lshlrev_b64 v[0:1], 3, v[0:1]
	v_mov_b32_e32 v2, s37
	v_add_co_u32_e32 v0, vcc, s36, v0
	v_addc_co_u32_e32 v1, vcc, v2, v1, vcc
	v_add_u32_e32 v44, 0x100, v44
	global_store_dwordx2 v[0:1], v[49:50], off
	s_or_b64 exec, exec, s[4:5]
	v_cmp_gt_i32_e32 vcc, s33, v44
	s_and_saveexec_b64 s[4:5], vcc
	s_cbranch_execnz .LBB1_22
	s_branch .LBB1_23
	.section	.rodata,"a",@progbits
	.p2align	6, 0x0
	.amdhsa_kernel _ZN2at6native29vectorized_elementwise_kernelILi16EZZZNS0_12_GLOBAL__N_121bessel_j1_kernel_cudaERNS_18TensorIteratorBaseEENKUlvE_clEvENKUlvE_clEvEUldE_St5arrayIPcLm2EEEEviT0_T1_
		.amdhsa_group_segment_fixed_size 0
		.amdhsa_private_segment_fixed_size 0
		.amdhsa_kernarg_size 24
		.amdhsa_user_sgpr_count 6
		.amdhsa_user_sgpr_private_segment_buffer 1
		.amdhsa_user_sgpr_dispatch_ptr 0
		.amdhsa_user_sgpr_queue_ptr 0
		.amdhsa_user_sgpr_kernarg_segment_ptr 1
		.amdhsa_user_sgpr_dispatch_id 0
		.amdhsa_user_sgpr_flat_scratch_init 0
		.amdhsa_user_sgpr_private_segment_size 0
		.amdhsa_uses_dynamic_stack 0
		.amdhsa_system_sgpr_private_segment_wavefront_offset 0
		.amdhsa_system_sgpr_workgroup_id_x 1
		.amdhsa_system_sgpr_workgroup_id_y 0
		.amdhsa_system_sgpr_workgroup_id_z 0
		.amdhsa_system_sgpr_workgroup_info 0
		.amdhsa_system_vgpr_workitem_id 0
		.amdhsa_next_free_vgpr 56
		.amdhsa_next_free_sgpr 48
		.amdhsa_reserve_vcc 1
		.amdhsa_reserve_flat_scratch 0
		.amdhsa_float_round_mode_32 0
		.amdhsa_float_round_mode_16_64 0
		.amdhsa_float_denorm_mode_32 3
		.amdhsa_float_denorm_mode_16_64 3
		.amdhsa_dx10_clamp 1
		.amdhsa_ieee_mode 1
		.amdhsa_fp16_overflow 0
		.amdhsa_exception_fp_ieee_invalid_op 0
		.amdhsa_exception_fp_denorm_src 0
		.amdhsa_exception_fp_ieee_div_zero 0
		.amdhsa_exception_fp_ieee_overflow 0
		.amdhsa_exception_fp_ieee_underflow 0
		.amdhsa_exception_fp_ieee_inexact 0
		.amdhsa_exception_int_div_zero 0
	.end_amdhsa_kernel
	.section	.text._ZN2at6native29vectorized_elementwise_kernelILi16EZZZNS0_12_GLOBAL__N_121bessel_j1_kernel_cudaERNS_18TensorIteratorBaseEENKUlvE_clEvENKUlvE_clEvEUldE_St5arrayIPcLm2EEEEviT0_T1_,"axG",@progbits,_ZN2at6native29vectorized_elementwise_kernelILi16EZZZNS0_12_GLOBAL__N_121bessel_j1_kernel_cudaERNS_18TensorIteratorBaseEENKUlvE_clEvENKUlvE_clEvEUldE_St5arrayIPcLm2EEEEviT0_T1_,comdat
.Lfunc_end1:
	.size	_ZN2at6native29vectorized_elementwise_kernelILi16EZZZNS0_12_GLOBAL__N_121bessel_j1_kernel_cudaERNS_18TensorIteratorBaseEENKUlvE_clEvENKUlvE_clEvEUldE_St5arrayIPcLm2EEEEviT0_T1_, .Lfunc_end1-_ZN2at6native29vectorized_elementwise_kernelILi16EZZZNS0_12_GLOBAL__N_121bessel_j1_kernel_cudaERNS_18TensorIteratorBaseEENKUlvE_clEvENKUlvE_clEvEUldE_St5arrayIPcLm2EEEEviT0_T1_
                                        ; -- End function
	.set _ZN2at6native29vectorized_elementwise_kernelILi16EZZZNS0_12_GLOBAL__N_121bessel_j1_kernel_cudaERNS_18TensorIteratorBaseEENKUlvE_clEvENKUlvE_clEvEUldE_St5arrayIPcLm2EEEEviT0_T1_.num_vgpr, max(56, .L_ZZZZN2at6native12_GLOBAL__N_121bessel_j1_kernel_cudaERNS_18TensorIteratorBaseEENKUlvE_clEvENKUlvE_clEvENKUldE_clEd.num_vgpr)
	.set _ZN2at6native29vectorized_elementwise_kernelILi16EZZZNS0_12_GLOBAL__N_121bessel_j1_kernel_cudaERNS_18TensorIteratorBaseEENKUlvE_clEvENKUlvE_clEvEUldE_St5arrayIPcLm2EEEEviT0_T1_.num_agpr, max(0, .L_ZZZZN2at6native12_GLOBAL__N_121bessel_j1_kernel_cudaERNS_18TensorIteratorBaseEENKUlvE_clEvENKUlvE_clEvENKUldE_clEd.num_agpr)
	.set _ZN2at6native29vectorized_elementwise_kernelILi16EZZZNS0_12_GLOBAL__N_121bessel_j1_kernel_cudaERNS_18TensorIteratorBaseEENKUlvE_clEvENKUlvE_clEvEUldE_St5arrayIPcLm2EEEEviT0_T1_.numbered_sgpr, max(48, .L_ZZZZN2at6native12_GLOBAL__N_121bessel_j1_kernel_cudaERNS_18TensorIteratorBaseEENKUlvE_clEvENKUlvE_clEvENKUldE_clEd.numbered_sgpr)
	.set _ZN2at6native29vectorized_elementwise_kernelILi16EZZZNS0_12_GLOBAL__N_121bessel_j1_kernel_cudaERNS_18TensorIteratorBaseEENKUlvE_clEvENKUlvE_clEvEUldE_St5arrayIPcLm2EEEEviT0_T1_.num_named_barrier, max(0, .L_ZZZZN2at6native12_GLOBAL__N_121bessel_j1_kernel_cudaERNS_18TensorIteratorBaseEENKUlvE_clEvENKUlvE_clEvENKUldE_clEd.num_named_barrier)
	.set _ZN2at6native29vectorized_elementwise_kernelILi16EZZZNS0_12_GLOBAL__N_121bessel_j1_kernel_cudaERNS_18TensorIteratorBaseEENKUlvE_clEvENKUlvE_clEvEUldE_St5arrayIPcLm2EEEEviT0_T1_.private_seg_size, 0+max(.L_ZZZZN2at6native12_GLOBAL__N_121bessel_j1_kernel_cudaERNS_18TensorIteratorBaseEENKUlvE_clEvENKUlvE_clEvENKUldE_clEd.private_seg_size)
	.set _ZN2at6native29vectorized_elementwise_kernelILi16EZZZNS0_12_GLOBAL__N_121bessel_j1_kernel_cudaERNS_18TensorIteratorBaseEENKUlvE_clEvENKUlvE_clEvEUldE_St5arrayIPcLm2EEEEviT0_T1_.uses_vcc, or(1, .L_ZZZZN2at6native12_GLOBAL__N_121bessel_j1_kernel_cudaERNS_18TensorIteratorBaseEENKUlvE_clEvENKUlvE_clEvENKUldE_clEd.uses_vcc)
	.set _ZN2at6native29vectorized_elementwise_kernelILi16EZZZNS0_12_GLOBAL__N_121bessel_j1_kernel_cudaERNS_18TensorIteratorBaseEENKUlvE_clEvENKUlvE_clEvEUldE_St5arrayIPcLm2EEEEviT0_T1_.uses_flat_scratch, or(0, .L_ZZZZN2at6native12_GLOBAL__N_121bessel_j1_kernel_cudaERNS_18TensorIteratorBaseEENKUlvE_clEvENKUlvE_clEvENKUldE_clEd.uses_flat_scratch)
	.set _ZN2at6native29vectorized_elementwise_kernelILi16EZZZNS0_12_GLOBAL__N_121bessel_j1_kernel_cudaERNS_18TensorIteratorBaseEENKUlvE_clEvENKUlvE_clEvEUldE_St5arrayIPcLm2EEEEviT0_T1_.has_dyn_sized_stack, or(0, .L_ZZZZN2at6native12_GLOBAL__N_121bessel_j1_kernel_cudaERNS_18TensorIteratorBaseEENKUlvE_clEvENKUlvE_clEvENKUldE_clEd.has_dyn_sized_stack)
	.set _ZN2at6native29vectorized_elementwise_kernelILi16EZZZNS0_12_GLOBAL__N_121bessel_j1_kernel_cudaERNS_18TensorIteratorBaseEENKUlvE_clEvENKUlvE_clEvEUldE_St5arrayIPcLm2EEEEviT0_T1_.has_recursion, or(0, .L_ZZZZN2at6native12_GLOBAL__N_121bessel_j1_kernel_cudaERNS_18TensorIteratorBaseEENKUlvE_clEvENKUlvE_clEvENKUldE_clEd.has_recursion)
	.set _ZN2at6native29vectorized_elementwise_kernelILi16EZZZNS0_12_GLOBAL__N_121bessel_j1_kernel_cudaERNS_18TensorIteratorBaseEENKUlvE_clEvENKUlvE_clEvEUldE_St5arrayIPcLm2EEEEviT0_T1_.has_indirect_call, or(0, .L_ZZZZN2at6native12_GLOBAL__N_121bessel_j1_kernel_cudaERNS_18TensorIteratorBaseEENKUlvE_clEvENKUlvE_clEvENKUldE_clEd.has_indirect_call)
	.section	.AMDGPU.csdata,"",@progbits
; Kernel info:
; codeLenInByte = 1120
; TotalNumSgprs: 52
; NumVgprs: 56
; ScratchSize: 0
; MemoryBound: 0
; FloatMode: 240
; IeeeMode: 1
; LDSByteSize: 0 bytes/workgroup (compile time only)
; SGPRBlocks: 6
; VGPRBlocks: 13
; NumSGPRsForWavesPerEU: 52
; NumVGPRsForWavesPerEU: 56
; Occupancy: 4
; WaveLimiterHint : 0
; COMPUTE_PGM_RSRC2:SCRATCH_EN: 0
; COMPUTE_PGM_RSRC2:USER_SGPR: 6
; COMPUTE_PGM_RSRC2:TRAP_HANDLER: 0
; COMPUTE_PGM_RSRC2:TGID_X_EN: 1
; COMPUTE_PGM_RSRC2:TGID_Y_EN: 0
; COMPUTE_PGM_RSRC2:TGID_Z_EN: 0
; COMPUTE_PGM_RSRC2:TIDIG_COMP_CNT: 0
	.section	.text._ZN2at6native29vectorized_elementwise_kernelILi8EZZZNS0_12_GLOBAL__N_121bessel_j1_kernel_cudaERNS_18TensorIteratorBaseEENKUlvE_clEvENKUlvE_clEvEUldE_St5arrayIPcLm2EEEEviT0_T1_,"axG",@progbits,_ZN2at6native29vectorized_elementwise_kernelILi8EZZZNS0_12_GLOBAL__N_121bessel_j1_kernel_cudaERNS_18TensorIteratorBaseEENKUlvE_clEvENKUlvE_clEvEUldE_St5arrayIPcLm2EEEEviT0_T1_,comdat
	.globl	_ZN2at6native29vectorized_elementwise_kernelILi8EZZZNS0_12_GLOBAL__N_121bessel_j1_kernel_cudaERNS_18TensorIteratorBaseEENKUlvE_clEvENKUlvE_clEvEUldE_St5arrayIPcLm2EEEEviT0_T1_ ; -- Begin function _ZN2at6native29vectorized_elementwise_kernelILi8EZZZNS0_12_GLOBAL__N_121bessel_j1_kernel_cudaERNS_18TensorIteratorBaseEENKUlvE_clEvENKUlvE_clEvEUldE_St5arrayIPcLm2EEEEviT0_T1_
	.p2align	8
	.type	_ZN2at6native29vectorized_elementwise_kernelILi8EZZZNS0_12_GLOBAL__N_121bessel_j1_kernel_cudaERNS_18TensorIteratorBaseEENKUlvE_clEvENKUlvE_clEvEUldE_St5arrayIPcLm2EEEEviT0_T1_,@function
_ZN2at6native29vectorized_elementwise_kernelILi8EZZZNS0_12_GLOBAL__N_121bessel_j1_kernel_cudaERNS_18TensorIteratorBaseEENKUlvE_clEvENKUlvE_clEvEUldE_St5arrayIPcLm2EEEEviT0_T1_: ; @_ZN2at6native29vectorized_elementwise_kernelILi8EZZZNS0_12_GLOBAL__N_121bessel_j1_kernel_cudaERNS_18TensorIteratorBaseEENKUlvE_clEvENKUlvE_clEvEUldE_St5arrayIPcLm2EEEEviT0_T1_
; %bb.0:
	s_add_u32 s0, s0, s7
	s_load_dword s7, s[4:5], 0x0
	s_load_dwordx4 s[36:39], s[4:5], 0x8
	s_addc_u32 s1, s1, 0
	s_lshl_b32 s44, s6, 10
	v_mov_b32_e32 v44, v0
	s_waitcnt lgkmcnt(0)
	s_sub_i32 s33, s7, s44
	s_cmpk_gt_i32 s33, 0x3ff
	s_mov_b64 s[4:5], -1
	s_mov_b32 s32, 0
	s_cbranch_scc0 .LBB2_2
; %bb.1:
	s_ashr_i32 s45, s44, 31
	s_lshl_b64 s[34:35], s[44:45], 3
	s_add_u32 s4, s38, s34
	s_addc_u32 s5, s39, s35
	v_lshlrev_b32_e32 v42, 5, v44
	global_load_dwordx4 v[38:41], v42, s[4:5]
	global_load_dwordx4 v[45:48], v42, s[4:5] offset:16
	s_getpc_b64 s[46:47]
	s_add_u32 s46, s46, _ZZZZN2at6native12_GLOBAL__N_121bessel_j1_kernel_cudaERNS_18TensorIteratorBaseEENKUlvE_clEvENKUlvE_clEvENKUldE_clEd@rel32@lo+4
	s_addc_u32 s47, s47, _ZZZZN2at6native12_GLOBAL__N_121bessel_j1_kernel_cudaERNS_18TensorIteratorBaseEENKUlvE_clEvENKUlvE_clEvENKUldE_clEd@rel32@hi+12
	s_waitcnt vmcnt(1)
	v_mov_b32_e32 v0, v38
	v_mov_b32_e32 v1, v39
	s_swappc_b64 s[30:31], s[46:47]
	v_mov_b32_e32 v38, v0
	v_mov_b32_e32 v39, v1
	v_mov_b32_e32 v0, v40
	v_mov_b32_e32 v1, v41
	s_swappc_b64 s[30:31], s[46:47]
	v_mov_b32_e32 v40, v0
	v_mov_b32_e32 v41, v1
	;; [unrolled: 5-line block ×3, first 2 shown]
	v_mov_b32_e32 v0, v47
	v_mov_b32_e32 v1, v48
	s_swappc_b64 s[30:31], s[46:47]
	s_add_u32 s4, s36, s34
	s_addc_u32 s5, s37, s35
	v_mov_b32_e32 v47, v0
	v_mov_b32_e32 v48, v1
	global_store_dwordx4 v42, v[38:41], s[4:5]
	global_store_dwordx4 v42, v[45:48], s[4:5] offset:16
	s_mov_b64 s[4:5], 0
.LBB2_2:
	s_andn2_b64 vcc, exec, s[4:5]
	s_cbranch_vccnz .LBB2_23
; %bb.3:
	v_mov_b32_e32 v38, 0
	v_mov_b32_e32 v0, 0
	v_cmp_gt_i32_e64 s[34:35], s33, v44
	v_mov_b32_e32 v39, 0
	v_or_b32_e32 v53, s44, v44
	v_mov_b32_e32 v1, 0
	v_mov_b32_e32 v2, v44
	s_and_saveexec_b64 s[4:5], s[34:35]
	s_cbranch_execz .LBB2_5
; %bb.4:
	v_mov_b32_e32 v54, 0
	v_lshlrev_b64 v[0:1], 3, v[53:54]
	v_mov_b32_e32 v2, s39
	v_add_co_u32_e32 v0, vcc, s38, v0
	v_addc_co_u32_e32 v1, vcc, v2, v1, vcc
	global_load_dwordx2 v[0:1], v[0:1], off
	v_or_b32_e32 v2, 0x100, v44
.LBB2_5:
	s_or_b64 exec, exec, s[4:5]
	v_cmp_gt_i32_e32 vcc, s33, v2
	s_and_saveexec_b64 s[4:5], vcc
	s_cbranch_execz .LBB2_7
; %bb.6:
	v_add_u32_e32 v3, s44, v2
	v_mov_b32_e32 v4, 0
	v_lshlrev_b64 v[3:4], 3, v[3:4]
	v_mov_b32_e32 v5, s39
	v_add_co_u32_e32 v3, vcc, s38, v3
	v_addc_co_u32_e32 v4, vcc, v5, v4, vcc
	global_load_dwordx2 v[38:39], v[3:4], off
	v_add_u32_e32 v2, 0x100, v2
.LBB2_7:
	s_or_b64 exec, exec, s[4:5]
	v_mov_b32_e32 v40, 0
	v_mov_b32_e32 v42, 0
	;; [unrolled: 1-line block ×4, first 2 shown]
	v_cmp_gt_i32_e32 vcc, s33, v2
	s_and_saveexec_b64 s[4:5], vcc
	s_cbranch_execz .LBB2_9
; %bb.8:
	v_add_u32_e32 v3, s44, v2
	v_mov_b32_e32 v4, 0
	v_lshlrev_b64 v[3:4], 3, v[3:4]
	v_mov_b32_e32 v5, s39
	v_add_co_u32_e32 v3, vcc, s38, v3
	v_addc_co_u32_e32 v4, vcc, v5, v4, vcc
	global_load_dwordx2 v[42:43], v[3:4], off
	v_add_u32_e32 v2, 0x100, v2
.LBB2_9:
	s_or_b64 exec, exec, s[4:5]
	v_cmp_gt_i32_e32 vcc, s33, v2
	s_and_saveexec_b64 s[4:5], vcc
	s_cbranch_execz .LBB2_11
; %bb.10:
	v_add_u32_e32 v2, s44, v2
	v_mov_b32_e32 v3, 0
	v_lshlrev_b64 v[2:3], 3, v[2:3]
	v_mov_b32_e32 v4, s39
	v_add_co_u32_e32 v2, vcc, s38, v2
	v_addc_co_u32_e32 v3, vcc, v4, v3, vcc
	global_load_dwordx2 v[40:41], v[2:3], off
.LBB2_11:
	s_or_b64 exec, exec, s[4:5]
	v_mov_b32_e32 v45, 0
	v_mov_b32_e32 v46, v45
	;; [unrolled: 1-line block ×8, first 2 shown]
	s_and_saveexec_b64 s[38:39], s[34:35]
	s_cbranch_execz .LBB2_13
; %bb.12:
	s_getpc_b64 s[4:5]
	s_add_u32 s4, s4, _ZZZZN2at6native12_GLOBAL__N_121bessel_j1_kernel_cudaERNS_18TensorIteratorBaseEENKUlvE_clEvENKUlvE_clEvENKUldE_clEd@rel32@lo+4
	s_addc_u32 s5, s5, _ZZZZN2at6native12_GLOBAL__N_121bessel_j1_kernel_cudaERNS_18TensorIteratorBaseEENKUlvE_clEvENKUlvE_clEvENKUldE_clEd@rel32@hi+12
	s_swappc_b64 s[30:31], s[4:5]
	v_mov_b32_e32 v7, v45
	v_mov_b32_e32 v2, v45
	;; [unrolled: 1-line block ×14, first 2 shown]
.LBB2_13:
	s_or_b64 exec, exec, s[38:39]
	v_or_b32_e32 v55, 0x100, v44
	v_cmp_gt_i32_e32 vcc, s33, v55
	s_and_saveexec_b64 s[38:39], vcc
	s_cbranch_execz .LBB2_15
; %bb.14:
	s_getpc_b64 s[4:5]
	s_add_u32 s4, s4, _ZZZZN2at6native12_GLOBAL__N_121bessel_j1_kernel_cudaERNS_18TensorIteratorBaseEENKUlvE_clEvENKUlvE_clEvENKUldE_clEd@rel32@lo+4
	s_addc_u32 s5, s5, _ZZZZN2at6native12_GLOBAL__N_121bessel_j1_kernel_cudaERNS_18TensorIteratorBaseEENKUlvE_clEvENKUlvE_clEvENKUldE_clEd@rel32@hi+12
	s_waitcnt vmcnt(0)
	v_mov_b32_e32 v0, v38
	v_mov_b32_e32 v1, v39
	s_swappc_b64 s[30:31], s[4:5]
	v_mov_b32_e32 v47, v0
	v_mov_b32_e32 v48, v1
.LBB2_15:
	s_or_b64 exec, exec, s[38:39]
	s_waitcnt vmcnt(0)
	v_or_b32_e32 v0, 0x200, v44
	v_cmp_gt_i32_e32 vcc, s33, v0
	s_and_saveexec_b64 s[38:39], vcc
	s_cbranch_execz .LBB2_17
; %bb.16:
	s_getpc_b64 s[4:5]
	s_add_u32 s4, s4, _ZZZZN2at6native12_GLOBAL__N_121bessel_j1_kernel_cudaERNS_18TensorIteratorBaseEENKUlvE_clEvENKUlvE_clEvENKUldE_clEd@rel32@lo+4
	s_addc_u32 s5, s5, _ZZZZN2at6native12_GLOBAL__N_121bessel_j1_kernel_cudaERNS_18TensorIteratorBaseEENKUlvE_clEvENKUlvE_clEvENKUldE_clEd@rel32@hi+12
	v_mov_b32_e32 v0, v42
	v_mov_b32_e32 v1, v43
	s_swappc_b64 s[30:31], s[4:5]
	v_mov_b32_e32 v49, v0
	v_mov_b32_e32 v50, v1
.LBB2_17:
	s_or_b64 exec, exec, s[38:39]
	v_or_b32_e32 v0, 0x300, v44
	v_cmp_gt_i32_e32 vcc, s33, v0
	s_and_saveexec_b64 s[38:39], vcc
	s_cbranch_execnz .LBB2_24
; %bb.18:
	s_or_b64 exec, exec, s[38:39]
	s_and_saveexec_b64 s[4:5], s[34:35]
	s_xor_b64 s[4:5], exec, s[4:5]
	s_cbranch_execnz .LBB2_25
.LBB2_19:
	s_or_b64 exec, exec, s[4:5]
	v_cmp_gt_i32_e32 vcc, s33, v44
	s_and_saveexec_b64 s[4:5], vcc
	s_cbranch_execnz .LBB2_26
.LBB2_20:
	s_or_b64 exec, exec, s[4:5]
	v_cmp_gt_i32_e32 vcc, s33, v44
	s_and_saveexec_b64 s[4:5], vcc
	s_cbranch_execnz .LBB2_27
.LBB2_21:
	s_or_b64 exec, exec, s[4:5]
	v_cmp_gt_i32_e32 vcc, s33, v44
	s_and_saveexec_b64 s[4:5], vcc
	s_cbranch_execz .LBB2_23
.LBB2_22:
	v_add_u32_e32 v0, s44, v44
	v_mov_b32_e32 v1, 0
	v_lshlrev_b64 v[0:1], 3, v[0:1]
	v_mov_b32_e32 v2, s37
	v_add_co_u32_e32 v0, vcc, s36, v0
	v_addc_co_u32_e32 v1, vcc, v2, v1, vcc
	global_store_dwordx2 v[0:1], v[51:52], off
.LBB2_23:
	s_endpgm
.LBB2_24:
	s_getpc_b64 s[4:5]
	s_add_u32 s4, s4, _ZZZZN2at6native12_GLOBAL__N_121bessel_j1_kernel_cudaERNS_18TensorIteratorBaseEENKUlvE_clEvENKUlvE_clEvENKUldE_clEd@rel32@lo+4
	s_addc_u32 s5, s5, _ZZZZN2at6native12_GLOBAL__N_121bessel_j1_kernel_cudaERNS_18TensorIteratorBaseEENKUlvE_clEvENKUlvE_clEvENKUldE_clEd@rel32@hi+12
	v_mov_b32_e32 v0, v40
	v_mov_b32_e32 v1, v41
	s_swappc_b64 s[30:31], s[4:5]
	v_mov_b32_e32 v51, v0
	v_mov_b32_e32 v52, v1
	s_or_b64 exec, exec, s[38:39]
	s_and_saveexec_b64 s[4:5], s[34:35]
	s_xor_b64 s[4:5], exec, s[4:5]
	s_cbranch_execz .LBB2_19
.LBB2_25:
	v_mov_b32_e32 v54, 0
	v_lshlrev_b64 v[0:1], 3, v[53:54]
	v_mov_b32_e32 v2, s37
	v_add_co_u32_e32 v0, vcc, s36, v0
	v_addc_co_u32_e32 v1, vcc, v2, v1, vcc
	v_mov_b32_e32 v44, v55
	global_store_dwordx2 v[0:1], v[45:46], off
	s_or_b64 exec, exec, s[4:5]
	v_cmp_gt_i32_e32 vcc, s33, v44
	s_and_saveexec_b64 s[4:5], vcc
	s_cbranch_execz .LBB2_20
.LBB2_26:
	v_add_u32_e32 v0, s44, v44
	v_mov_b32_e32 v1, 0
	v_lshlrev_b64 v[0:1], 3, v[0:1]
	v_mov_b32_e32 v2, s37
	v_add_co_u32_e32 v0, vcc, s36, v0
	v_addc_co_u32_e32 v1, vcc, v2, v1, vcc
	v_add_u32_e32 v44, 0x100, v44
	global_store_dwordx2 v[0:1], v[47:48], off
	s_or_b64 exec, exec, s[4:5]
	v_cmp_gt_i32_e32 vcc, s33, v44
	s_and_saveexec_b64 s[4:5], vcc
	s_cbranch_execz .LBB2_21
.LBB2_27:
	v_add_u32_e32 v0, s44, v44
	v_mov_b32_e32 v1, 0
	v_lshlrev_b64 v[0:1], 3, v[0:1]
	v_mov_b32_e32 v2, s37
	v_add_co_u32_e32 v0, vcc, s36, v0
	v_addc_co_u32_e32 v1, vcc, v2, v1, vcc
	v_add_u32_e32 v44, 0x100, v44
	global_store_dwordx2 v[0:1], v[49:50], off
	s_or_b64 exec, exec, s[4:5]
	v_cmp_gt_i32_e32 vcc, s33, v44
	s_and_saveexec_b64 s[4:5], vcc
	s_cbranch_execnz .LBB2_22
	s_branch .LBB2_23
	.section	.rodata,"a",@progbits
	.p2align	6, 0x0
	.amdhsa_kernel _ZN2at6native29vectorized_elementwise_kernelILi8EZZZNS0_12_GLOBAL__N_121bessel_j1_kernel_cudaERNS_18TensorIteratorBaseEENKUlvE_clEvENKUlvE_clEvEUldE_St5arrayIPcLm2EEEEviT0_T1_
		.amdhsa_group_segment_fixed_size 0
		.amdhsa_private_segment_fixed_size 0
		.amdhsa_kernarg_size 24
		.amdhsa_user_sgpr_count 6
		.amdhsa_user_sgpr_private_segment_buffer 1
		.amdhsa_user_sgpr_dispatch_ptr 0
		.amdhsa_user_sgpr_queue_ptr 0
		.amdhsa_user_sgpr_kernarg_segment_ptr 1
		.amdhsa_user_sgpr_dispatch_id 0
		.amdhsa_user_sgpr_flat_scratch_init 0
		.amdhsa_user_sgpr_private_segment_size 0
		.amdhsa_uses_dynamic_stack 0
		.amdhsa_system_sgpr_private_segment_wavefront_offset 0
		.amdhsa_system_sgpr_workgroup_id_x 1
		.amdhsa_system_sgpr_workgroup_id_y 0
		.amdhsa_system_sgpr_workgroup_id_z 0
		.amdhsa_system_sgpr_workgroup_info 0
		.amdhsa_system_vgpr_workitem_id 0
		.amdhsa_next_free_vgpr 56
		.amdhsa_next_free_sgpr 48
		.amdhsa_reserve_vcc 1
		.amdhsa_reserve_flat_scratch 0
		.amdhsa_float_round_mode_32 0
		.amdhsa_float_round_mode_16_64 0
		.amdhsa_float_denorm_mode_32 3
		.amdhsa_float_denorm_mode_16_64 3
		.amdhsa_dx10_clamp 1
		.amdhsa_ieee_mode 1
		.amdhsa_fp16_overflow 0
		.amdhsa_exception_fp_ieee_invalid_op 0
		.amdhsa_exception_fp_denorm_src 0
		.amdhsa_exception_fp_ieee_div_zero 0
		.amdhsa_exception_fp_ieee_overflow 0
		.amdhsa_exception_fp_ieee_underflow 0
		.amdhsa_exception_fp_ieee_inexact 0
		.amdhsa_exception_int_div_zero 0
	.end_amdhsa_kernel
	.section	.text._ZN2at6native29vectorized_elementwise_kernelILi8EZZZNS0_12_GLOBAL__N_121bessel_j1_kernel_cudaERNS_18TensorIteratorBaseEENKUlvE_clEvENKUlvE_clEvEUldE_St5arrayIPcLm2EEEEviT0_T1_,"axG",@progbits,_ZN2at6native29vectorized_elementwise_kernelILi8EZZZNS0_12_GLOBAL__N_121bessel_j1_kernel_cudaERNS_18TensorIteratorBaseEENKUlvE_clEvENKUlvE_clEvEUldE_St5arrayIPcLm2EEEEviT0_T1_,comdat
.Lfunc_end2:
	.size	_ZN2at6native29vectorized_elementwise_kernelILi8EZZZNS0_12_GLOBAL__N_121bessel_j1_kernel_cudaERNS_18TensorIteratorBaseEENKUlvE_clEvENKUlvE_clEvEUldE_St5arrayIPcLm2EEEEviT0_T1_, .Lfunc_end2-_ZN2at6native29vectorized_elementwise_kernelILi8EZZZNS0_12_GLOBAL__N_121bessel_j1_kernel_cudaERNS_18TensorIteratorBaseEENKUlvE_clEvENKUlvE_clEvEUldE_St5arrayIPcLm2EEEEviT0_T1_
                                        ; -- End function
	.set _ZN2at6native29vectorized_elementwise_kernelILi8EZZZNS0_12_GLOBAL__N_121bessel_j1_kernel_cudaERNS_18TensorIteratorBaseEENKUlvE_clEvENKUlvE_clEvEUldE_St5arrayIPcLm2EEEEviT0_T1_.num_vgpr, max(56, .L_ZZZZN2at6native12_GLOBAL__N_121bessel_j1_kernel_cudaERNS_18TensorIteratorBaseEENKUlvE_clEvENKUlvE_clEvENKUldE_clEd.num_vgpr)
	.set _ZN2at6native29vectorized_elementwise_kernelILi8EZZZNS0_12_GLOBAL__N_121bessel_j1_kernel_cudaERNS_18TensorIteratorBaseEENKUlvE_clEvENKUlvE_clEvEUldE_St5arrayIPcLm2EEEEviT0_T1_.num_agpr, max(0, .L_ZZZZN2at6native12_GLOBAL__N_121bessel_j1_kernel_cudaERNS_18TensorIteratorBaseEENKUlvE_clEvENKUlvE_clEvENKUldE_clEd.num_agpr)
	.set _ZN2at6native29vectorized_elementwise_kernelILi8EZZZNS0_12_GLOBAL__N_121bessel_j1_kernel_cudaERNS_18TensorIteratorBaseEENKUlvE_clEvENKUlvE_clEvEUldE_St5arrayIPcLm2EEEEviT0_T1_.numbered_sgpr, max(48, .L_ZZZZN2at6native12_GLOBAL__N_121bessel_j1_kernel_cudaERNS_18TensorIteratorBaseEENKUlvE_clEvENKUlvE_clEvENKUldE_clEd.numbered_sgpr)
	.set _ZN2at6native29vectorized_elementwise_kernelILi8EZZZNS0_12_GLOBAL__N_121bessel_j1_kernel_cudaERNS_18TensorIteratorBaseEENKUlvE_clEvENKUlvE_clEvEUldE_St5arrayIPcLm2EEEEviT0_T1_.num_named_barrier, max(0, .L_ZZZZN2at6native12_GLOBAL__N_121bessel_j1_kernel_cudaERNS_18TensorIteratorBaseEENKUlvE_clEvENKUlvE_clEvENKUldE_clEd.num_named_barrier)
	.set _ZN2at6native29vectorized_elementwise_kernelILi8EZZZNS0_12_GLOBAL__N_121bessel_j1_kernel_cudaERNS_18TensorIteratorBaseEENKUlvE_clEvENKUlvE_clEvEUldE_St5arrayIPcLm2EEEEviT0_T1_.private_seg_size, 0+max(.L_ZZZZN2at6native12_GLOBAL__N_121bessel_j1_kernel_cudaERNS_18TensorIteratorBaseEENKUlvE_clEvENKUlvE_clEvENKUldE_clEd.private_seg_size)
	.set _ZN2at6native29vectorized_elementwise_kernelILi8EZZZNS0_12_GLOBAL__N_121bessel_j1_kernel_cudaERNS_18TensorIteratorBaseEENKUlvE_clEvENKUlvE_clEvEUldE_St5arrayIPcLm2EEEEviT0_T1_.uses_vcc, or(1, .L_ZZZZN2at6native12_GLOBAL__N_121bessel_j1_kernel_cudaERNS_18TensorIteratorBaseEENKUlvE_clEvENKUlvE_clEvENKUldE_clEd.uses_vcc)
	.set _ZN2at6native29vectorized_elementwise_kernelILi8EZZZNS0_12_GLOBAL__N_121bessel_j1_kernel_cudaERNS_18TensorIteratorBaseEENKUlvE_clEvENKUlvE_clEvEUldE_St5arrayIPcLm2EEEEviT0_T1_.uses_flat_scratch, or(0, .L_ZZZZN2at6native12_GLOBAL__N_121bessel_j1_kernel_cudaERNS_18TensorIteratorBaseEENKUlvE_clEvENKUlvE_clEvENKUldE_clEd.uses_flat_scratch)
	.set _ZN2at6native29vectorized_elementwise_kernelILi8EZZZNS0_12_GLOBAL__N_121bessel_j1_kernel_cudaERNS_18TensorIteratorBaseEENKUlvE_clEvENKUlvE_clEvEUldE_St5arrayIPcLm2EEEEviT0_T1_.has_dyn_sized_stack, or(0, .L_ZZZZN2at6native12_GLOBAL__N_121bessel_j1_kernel_cudaERNS_18TensorIteratorBaseEENKUlvE_clEvENKUlvE_clEvENKUldE_clEd.has_dyn_sized_stack)
	.set _ZN2at6native29vectorized_elementwise_kernelILi8EZZZNS0_12_GLOBAL__N_121bessel_j1_kernel_cudaERNS_18TensorIteratorBaseEENKUlvE_clEvENKUlvE_clEvEUldE_St5arrayIPcLm2EEEEviT0_T1_.has_recursion, or(0, .L_ZZZZN2at6native12_GLOBAL__N_121bessel_j1_kernel_cudaERNS_18TensorIteratorBaseEENKUlvE_clEvENKUlvE_clEvENKUldE_clEd.has_recursion)
	.set _ZN2at6native29vectorized_elementwise_kernelILi8EZZZNS0_12_GLOBAL__N_121bessel_j1_kernel_cudaERNS_18TensorIteratorBaseEENKUlvE_clEvENKUlvE_clEvEUldE_St5arrayIPcLm2EEEEviT0_T1_.has_indirect_call, or(0, .L_ZZZZN2at6native12_GLOBAL__N_121bessel_j1_kernel_cudaERNS_18TensorIteratorBaseEENKUlvE_clEvENKUlvE_clEvENKUldE_clEd.has_indirect_call)
	.section	.AMDGPU.csdata,"",@progbits
; Kernel info:
; codeLenInByte = 1120
; TotalNumSgprs: 52
; NumVgprs: 56
; ScratchSize: 0
; MemoryBound: 0
; FloatMode: 240
; IeeeMode: 1
; LDSByteSize: 0 bytes/workgroup (compile time only)
; SGPRBlocks: 6
; VGPRBlocks: 13
; NumSGPRsForWavesPerEU: 52
; NumVGPRsForWavesPerEU: 56
; Occupancy: 4
; WaveLimiterHint : 0
; COMPUTE_PGM_RSRC2:SCRATCH_EN: 0
; COMPUTE_PGM_RSRC2:USER_SGPR: 6
; COMPUTE_PGM_RSRC2:TRAP_HANDLER: 0
; COMPUTE_PGM_RSRC2:TGID_X_EN: 1
; COMPUTE_PGM_RSRC2:TGID_Y_EN: 0
; COMPUTE_PGM_RSRC2:TGID_Z_EN: 0
; COMPUTE_PGM_RSRC2:TIDIG_COMP_CNT: 0
	.section	.text._ZN2at6native29vectorized_elementwise_kernelILi4EZZZNS0_12_GLOBAL__N_121bessel_j1_kernel_cudaERNS_18TensorIteratorBaseEENKUlvE_clEvENKUlvE_clEvEUldE_St5arrayIPcLm2EEEEviT0_T1_,"axG",@progbits,_ZN2at6native29vectorized_elementwise_kernelILi4EZZZNS0_12_GLOBAL__N_121bessel_j1_kernel_cudaERNS_18TensorIteratorBaseEENKUlvE_clEvENKUlvE_clEvEUldE_St5arrayIPcLm2EEEEviT0_T1_,comdat
	.globl	_ZN2at6native29vectorized_elementwise_kernelILi4EZZZNS0_12_GLOBAL__N_121bessel_j1_kernel_cudaERNS_18TensorIteratorBaseEENKUlvE_clEvENKUlvE_clEvEUldE_St5arrayIPcLm2EEEEviT0_T1_ ; -- Begin function _ZN2at6native29vectorized_elementwise_kernelILi4EZZZNS0_12_GLOBAL__N_121bessel_j1_kernel_cudaERNS_18TensorIteratorBaseEENKUlvE_clEvENKUlvE_clEvEUldE_St5arrayIPcLm2EEEEviT0_T1_
	.p2align	8
	.type	_ZN2at6native29vectorized_elementwise_kernelILi4EZZZNS0_12_GLOBAL__N_121bessel_j1_kernel_cudaERNS_18TensorIteratorBaseEENKUlvE_clEvENKUlvE_clEvEUldE_St5arrayIPcLm2EEEEviT0_T1_,@function
_ZN2at6native29vectorized_elementwise_kernelILi4EZZZNS0_12_GLOBAL__N_121bessel_j1_kernel_cudaERNS_18TensorIteratorBaseEENKUlvE_clEvENKUlvE_clEvEUldE_St5arrayIPcLm2EEEEviT0_T1_: ; @_ZN2at6native29vectorized_elementwise_kernelILi4EZZZNS0_12_GLOBAL__N_121bessel_j1_kernel_cudaERNS_18TensorIteratorBaseEENKUlvE_clEvENKUlvE_clEvEUldE_St5arrayIPcLm2EEEEviT0_T1_
; %bb.0:
	s_add_u32 s0, s0, s7
	s_load_dword s7, s[4:5], 0x0
	s_load_dwordx4 s[36:39], s[4:5], 0x8
	s_addc_u32 s1, s1, 0
	s_lshl_b32 s44, s6, 10
	v_mov_b32_e32 v44, v0
	s_waitcnt lgkmcnt(0)
	s_sub_i32 s33, s7, s44
	s_cmpk_gt_i32 s33, 0x3ff
	s_mov_b64 s[4:5], -1
	s_mov_b32 s32, 0
	s_cbranch_scc0 .LBB3_2
; %bb.1:
	s_ashr_i32 s45, s44, 31
	s_lshl_b64 s[34:35], s[44:45], 3
	s_add_u32 s4, s38, s34
	s_addc_u32 s5, s39, s35
	v_lshlrev_b32_e32 v42, 5, v44
	global_load_dwordx4 v[38:41], v42, s[4:5]
	global_load_dwordx4 v[45:48], v42, s[4:5] offset:16
	s_getpc_b64 s[46:47]
	s_add_u32 s46, s46, _ZZZZN2at6native12_GLOBAL__N_121bessel_j1_kernel_cudaERNS_18TensorIteratorBaseEENKUlvE_clEvENKUlvE_clEvENKUldE_clEd@rel32@lo+4
	s_addc_u32 s47, s47, _ZZZZN2at6native12_GLOBAL__N_121bessel_j1_kernel_cudaERNS_18TensorIteratorBaseEENKUlvE_clEvENKUlvE_clEvENKUldE_clEd@rel32@hi+12
	s_waitcnt vmcnt(1)
	v_mov_b32_e32 v0, v38
	v_mov_b32_e32 v1, v39
	s_swappc_b64 s[30:31], s[46:47]
	v_mov_b32_e32 v38, v0
	v_mov_b32_e32 v39, v1
	v_mov_b32_e32 v0, v40
	v_mov_b32_e32 v1, v41
	s_swappc_b64 s[30:31], s[46:47]
	v_mov_b32_e32 v40, v0
	v_mov_b32_e32 v41, v1
	;; [unrolled: 5-line block ×3, first 2 shown]
	v_mov_b32_e32 v0, v47
	v_mov_b32_e32 v1, v48
	s_swappc_b64 s[30:31], s[46:47]
	s_add_u32 s4, s36, s34
	s_addc_u32 s5, s37, s35
	v_mov_b32_e32 v47, v0
	v_mov_b32_e32 v48, v1
	global_store_dwordx4 v42, v[38:41], s[4:5]
	global_store_dwordx4 v42, v[45:48], s[4:5] offset:16
	s_mov_b64 s[4:5], 0
.LBB3_2:
	s_andn2_b64 vcc, exec, s[4:5]
	s_cbranch_vccnz .LBB3_23
; %bb.3:
	v_mov_b32_e32 v38, 0
	v_mov_b32_e32 v0, 0
	v_cmp_gt_i32_e64 s[34:35], s33, v44
	v_mov_b32_e32 v39, 0
	v_or_b32_e32 v53, s44, v44
	v_mov_b32_e32 v1, 0
	v_mov_b32_e32 v2, v44
	s_and_saveexec_b64 s[4:5], s[34:35]
	s_cbranch_execz .LBB3_5
; %bb.4:
	v_mov_b32_e32 v54, 0
	v_lshlrev_b64 v[0:1], 3, v[53:54]
	v_mov_b32_e32 v2, s39
	v_add_co_u32_e32 v0, vcc, s38, v0
	v_addc_co_u32_e32 v1, vcc, v2, v1, vcc
	global_load_dwordx2 v[0:1], v[0:1], off
	v_or_b32_e32 v2, 0x100, v44
.LBB3_5:
	s_or_b64 exec, exec, s[4:5]
	v_cmp_gt_i32_e32 vcc, s33, v2
	s_and_saveexec_b64 s[4:5], vcc
	s_cbranch_execz .LBB3_7
; %bb.6:
	v_add_u32_e32 v3, s44, v2
	v_mov_b32_e32 v4, 0
	v_lshlrev_b64 v[3:4], 3, v[3:4]
	v_mov_b32_e32 v5, s39
	v_add_co_u32_e32 v3, vcc, s38, v3
	v_addc_co_u32_e32 v4, vcc, v5, v4, vcc
	global_load_dwordx2 v[38:39], v[3:4], off
	v_add_u32_e32 v2, 0x100, v2
.LBB3_7:
	s_or_b64 exec, exec, s[4:5]
	v_mov_b32_e32 v40, 0
	v_mov_b32_e32 v42, 0
	;; [unrolled: 1-line block ×4, first 2 shown]
	v_cmp_gt_i32_e32 vcc, s33, v2
	s_and_saveexec_b64 s[4:5], vcc
	s_cbranch_execz .LBB3_9
; %bb.8:
	v_add_u32_e32 v3, s44, v2
	v_mov_b32_e32 v4, 0
	v_lshlrev_b64 v[3:4], 3, v[3:4]
	v_mov_b32_e32 v5, s39
	v_add_co_u32_e32 v3, vcc, s38, v3
	v_addc_co_u32_e32 v4, vcc, v5, v4, vcc
	global_load_dwordx2 v[42:43], v[3:4], off
	v_add_u32_e32 v2, 0x100, v2
.LBB3_9:
	s_or_b64 exec, exec, s[4:5]
	v_cmp_gt_i32_e32 vcc, s33, v2
	s_and_saveexec_b64 s[4:5], vcc
	s_cbranch_execz .LBB3_11
; %bb.10:
	v_add_u32_e32 v2, s44, v2
	v_mov_b32_e32 v3, 0
	v_lshlrev_b64 v[2:3], 3, v[2:3]
	v_mov_b32_e32 v4, s39
	v_add_co_u32_e32 v2, vcc, s38, v2
	v_addc_co_u32_e32 v3, vcc, v4, v3, vcc
	global_load_dwordx2 v[40:41], v[2:3], off
.LBB3_11:
	s_or_b64 exec, exec, s[4:5]
	v_mov_b32_e32 v45, 0
	v_mov_b32_e32 v46, v45
	;; [unrolled: 1-line block ×8, first 2 shown]
	s_and_saveexec_b64 s[38:39], s[34:35]
	s_cbranch_execz .LBB3_13
; %bb.12:
	s_getpc_b64 s[4:5]
	s_add_u32 s4, s4, _ZZZZN2at6native12_GLOBAL__N_121bessel_j1_kernel_cudaERNS_18TensorIteratorBaseEENKUlvE_clEvENKUlvE_clEvENKUldE_clEd@rel32@lo+4
	s_addc_u32 s5, s5, _ZZZZN2at6native12_GLOBAL__N_121bessel_j1_kernel_cudaERNS_18TensorIteratorBaseEENKUlvE_clEvENKUlvE_clEvENKUldE_clEd@rel32@hi+12
	s_swappc_b64 s[30:31], s[4:5]
	v_mov_b32_e32 v7, v45
	v_mov_b32_e32 v2, v45
	;; [unrolled: 1-line block ×14, first 2 shown]
.LBB3_13:
	s_or_b64 exec, exec, s[38:39]
	v_or_b32_e32 v55, 0x100, v44
	v_cmp_gt_i32_e32 vcc, s33, v55
	s_and_saveexec_b64 s[38:39], vcc
	s_cbranch_execz .LBB3_15
; %bb.14:
	s_getpc_b64 s[4:5]
	s_add_u32 s4, s4, _ZZZZN2at6native12_GLOBAL__N_121bessel_j1_kernel_cudaERNS_18TensorIteratorBaseEENKUlvE_clEvENKUlvE_clEvENKUldE_clEd@rel32@lo+4
	s_addc_u32 s5, s5, _ZZZZN2at6native12_GLOBAL__N_121bessel_j1_kernel_cudaERNS_18TensorIteratorBaseEENKUlvE_clEvENKUlvE_clEvENKUldE_clEd@rel32@hi+12
	s_waitcnt vmcnt(0)
	v_mov_b32_e32 v0, v38
	v_mov_b32_e32 v1, v39
	s_swappc_b64 s[30:31], s[4:5]
	v_mov_b32_e32 v47, v0
	v_mov_b32_e32 v48, v1
.LBB3_15:
	s_or_b64 exec, exec, s[38:39]
	s_waitcnt vmcnt(0)
	v_or_b32_e32 v0, 0x200, v44
	v_cmp_gt_i32_e32 vcc, s33, v0
	s_and_saveexec_b64 s[38:39], vcc
	s_cbranch_execz .LBB3_17
; %bb.16:
	s_getpc_b64 s[4:5]
	s_add_u32 s4, s4, _ZZZZN2at6native12_GLOBAL__N_121bessel_j1_kernel_cudaERNS_18TensorIteratorBaseEENKUlvE_clEvENKUlvE_clEvENKUldE_clEd@rel32@lo+4
	s_addc_u32 s5, s5, _ZZZZN2at6native12_GLOBAL__N_121bessel_j1_kernel_cudaERNS_18TensorIteratorBaseEENKUlvE_clEvENKUlvE_clEvENKUldE_clEd@rel32@hi+12
	v_mov_b32_e32 v0, v42
	v_mov_b32_e32 v1, v43
	s_swappc_b64 s[30:31], s[4:5]
	v_mov_b32_e32 v49, v0
	v_mov_b32_e32 v50, v1
.LBB3_17:
	s_or_b64 exec, exec, s[38:39]
	v_or_b32_e32 v0, 0x300, v44
	v_cmp_gt_i32_e32 vcc, s33, v0
	s_and_saveexec_b64 s[38:39], vcc
	s_cbranch_execnz .LBB3_24
; %bb.18:
	s_or_b64 exec, exec, s[38:39]
	s_and_saveexec_b64 s[4:5], s[34:35]
	s_xor_b64 s[4:5], exec, s[4:5]
	s_cbranch_execnz .LBB3_25
.LBB3_19:
	s_or_b64 exec, exec, s[4:5]
	v_cmp_gt_i32_e32 vcc, s33, v44
	s_and_saveexec_b64 s[4:5], vcc
	s_cbranch_execnz .LBB3_26
.LBB3_20:
	s_or_b64 exec, exec, s[4:5]
	v_cmp_gt_i32_e32 vcc, s33, v44
	s_and_saveexec_b64 s[4:5], vcc
	s_cbranch_execnz .LBB3_27
.LBB3_21:
	s_or_b64 exec, exec, s[4:5]
	v_cmp_gt_i32_e32 vcc, s33, v44
	s_and_saveexec_b64 s[4:5], vcc
	s_cbranch_execz .LBB3_23
.LBB3_22:
	v_add_u32_e32 v0, s44, v44
	v_mov_b32_e32 v1, 0
	v_lshlrev_b64 v[0:1], 3, v[0:1]
	v_mov_b32_e32 v2, s37
	v_add_co_u32_e32 v0, vcc, s36, v0
	v_addc_co_u32_e32 v1, vcc, v2, v1, vcc
	global_store_dwordx2 v[0:1], v[51:52], off
.LBB3_23:
	s_endpgm
.LBB3_24:
	s_getpc_b64 s[4:5]
	s_add_u32 s4, s4, _ZZZZN2at6native12_GLOBAL__N_121bessel_j1_kernel_cudaERNS_18TensorIteratorBaseEENKUlvE_clEvENKUlvE_clEvENKUldE_clEd@rel32@lo+4
	s_addc_u32 s5, s5, _ZZZZN2at6native12_GLOBAL__N_121bessel_j1_kernel_cudaERNS_18TensorIteratorBaseEENKUlvE_clEvENKUlvE_clEvENKUldE_clEd@rel32@hi+12
	v_mov_b32_e32 v0, v40
	v_mov_b32_e32 v1, v41
	s_swappc_b64 s[30:31], s[4:5]
	v_mov_b32_e32 v51, v0
	v_mov_b32_e32 v52, v1
	s_or_b64 exec, exec, s[38:39]
	s_and_saveexec_b64 s[4:5], s[34:35]
	s_xor_b64 s[4:5], exec, s[4:5]
	s_cbranch_execz .LBB3_19
.LBB3_25:
	v_mov_b32_e32 v54, 0
	v_lshlrev_b64 v[0:1], 3, v[53:54]
	v_mov_b32_e32 v2, s37
	v_add_co_u32_e32 v0, vcc, s36, v0
	v_addc_co_u32_e32 v1, vcc, v2, v1, vcc
	v_mov_b32_e32 v44, v55
	global_store_dwordx2 v[0:1], v[45:46], off
	s_or_b64 exec, exec, s[4:5]
	v_cmp_gt_i32_e32 vcc, s33, v44
	s_and_saveexec_b64 s[4:5], vcc
	s_cbranch_execz .LBB3_20
.LBB3_26:
	v_add_u32_e32 v0, s44, v44
	v_mov_b32_e32 v1, 0
	v_lshlrev_b64 v[0:1], 3, v[0:1]
	v_mov_b32_e32 v2, s37
	v_add_co_u32_e32 v0, vcc, s36, v0
	v_addc_co_u32_e32 v1, vcc, v2, v1, vcc
	v_add_u32_e32 v44, 0x100, v44
	global_store_dwordx2 v[0:1], v[47:48], off
	s_or_b64 exec, exec, s[4:5]
	v_cmp_gt_i32_e32 vcc, s33, v44
	s_and_saveexec_b64 s[4:5], vcc
	s_cbranch_execz .LBB3_21
.LBB3_27:
	v_add_u32_e32 v0, s44, v44
	v_mov_b32_e32 v1, 0
	v_lshlrev_b64 v[0:1], 3, v[0:1]
	v_mov_b32_e32 v2, s37
	v_add_co_u32_e32 v0, vcc, s36, v0
	v_addc_co_u32_e32 v1, vcc, v2, v1, vcc
	v_add_u32_e32 v44, 0x100, v44
	global_store_dwordx2 v[0:1], v[49:50], off
	s_or_b64 exec, exec, s[4:5]
	v_cmp_gt_i32_e32 vcc, s33, v44
	s_and_saveexec_b64 s[4:5], vcc
	s_cbranch_execnz .LBB3_22
	s_branch .LBB3_23
	.section	.rodata,"a",@progbits
	.p2align	6, 0x0
	.amdhsa_kernel _ZN2at6native29vectorized_elementwise_kernelILi4EZZZNS0_12_GLOBAL__N_121bessel_j1_kernel_cudaERNS_18TensorIteratorBaseEENKUlvE_clEvENKUlvE_clEvEUldE_St5arrayIPcLm2EEEEviT0_T1_
		.amdhsa_group_segment_fixed_size 0
		.amdhsa_private_segment_fixed_size 0
		.amdhsa_kernarg_size 24
		.amdhsa_user_sgpr_count 6
		.amdhsa_user_sgpr_private_segment_buffer 1
		.amdhsa_user_sgpr_dispatch_ptr 0
		.amdhsa_user_sgpr_queue_ptr 0
		.amdhsa_user_sgpr_kernarg_segment_ptr 1
		.amdhsa_user_sgpr_dispatch_id 0
		.amdhsa_user_sgpr_flat_scratch_init 0
		.amdhsa_user_sgpr_private_segment_size 0
		.amdhsa_uses_dynamic_stack 0
		.amdhsa_system_sgpr_private_segment_wavefront_offset 0
		.amdhsa_system_sgpr_workgroup_id_x 1
		.amdhsa_system_sgpr_workgroup_id_y 0
		.amdhsa_system_sgpr_workgroup_id_z 0
		.amdhsa_system_sgpr_workgroup_info 0
		.amdhsa_system_vgpr_workitem_id 0
		.amdhsa_next_free_vgpr 56
		.amdhsa_next_free_sgpr 48
		.amdhsa_reserve_vcc 1
		.amdhsa_reserve_flat_scratch 0
		.amdhsa_float_round_mode_32 0
		.amdhsa_float_round_mode_16_64 0
		.amdhsa_float_denorm_mode_32 3
		.amdhsa_float_denorm_mode_16_64 3
		.amdhsa_dx10_clamp 1
		.amdhsa_ieee_mode 1
		.amdhsa_fp16_overflow 0
		.amdhsa_exception_fp_ieee_invalid_op 0
		.amdhsa_exception_fp_denorm_src 0
		.amdhsa_exception_fp_ieee_div_zero 0
		.amdhsa_exception_fp_ieee_overflow 0
		.amdhsa_exception_fp_ieee_underflow 0
		.amdhsa_exception_fp_ieee_inexact 0
		.amdhsa_exception_int_div_zero 0
	.end_amdhsa_kernel
	.section	.text._ZN2at6native29vectorized_elementwise_kernelILi4EZZZNS0_12_GLOBAL__N_121bessel_j1_kernel_cudaERNS_18TensorIteratorBaseEENKUlvE_clEvENKUlvE_clEvEUldE_St5arrayIPcLm2EEEEviT0_T1_,"axG",@progbits,_ZN2at6native29vectorized_elementwise_kernelILi4EZZZNS0_12_GLOBAL__N_121bessel_j1_kernel_cudaERNS_18TensorIteratorBaseEENKUlvE_clEvENKUlvE_clEvEUldE_St5arrayIPcLm2EEEEviT0_T1_,comdat
.Lfunc_end3:
	.size	_ZN2at6native29vectorized_elementwise_kernelILi4EZZZNS0_12_GLOBAL__N_121bessel_j1_kernel_cudaERNS_18TensorIteratorBaseEENKUlvE_clEvENKUlvE_clEvEUldE_St5arrayIPcLm2EEEEviT0_T1_, .Lfunc_end3-_ZN2at6native29vectorized_elementwise_kernelILi4EZZZNS0_12_GLOBAL__N_121bessel_j1_kernel_cudaERNS_18TensorIteratorBaseEENKUlvE_clEvENKUlvE_clEvEUldE_St5arrayIPcLm2EEEEviT0_T1_
                                        ; -- End function
	.set _ZN2at6native29vectorized_elementwise_kernelILi4EZZZNS0_12_GLOBAL__N_121bessel_j1_kernel_cudaERNS_18TensorIteratorBaseEENKUlvE_clEvENKUlvE_clEvEUldE_St5arrayIPcLm2EEEEviT0_T1_.num_vgpr, max(56, .L_ZZZZN2at6native12_GLOBAL__N_121bessel_j1_kernel_cudaERNS_18TensorIteratorBaseEENKUlvE_clEvENKUlvE_clEvENKUldE_clEd.num_vgpr)
	.set _ZN2at6native29vectorized_elementwise_kernelILi4EZZZNS0_12_GLOBAL__N_121bessel_j1_kernel_cudaERNS_18TensorIteratorBaseEENKUlvE_clEvENKUlvE_clEvEUldE_St5arrayIPcLm2EEEEviT0_T1_.num_agpr, max(0, .L_ZZZZN2at6native12_GLOBAL__N_121bessel_j1_kernel_cudaERNS_18TensorIteratorBaseEENKUlvE_clEvENKUlvE_clEvENKUldE_clEd.num_agpr)
	.set _ZN2at6native29vectorized_elementwise_kernelILi4EZZZNS0_12_GLOBAL__N_121bessel_j1_kernel_cudaERNS_18TensorIteratorBaseEENKUlvE_clEvENKUlvE_clEvEUldE_St5arrayIPcLm2EEEEviT0_T1_.numbered_sgpr, max(48, .L_ZZZZN2at6native12_GLOBAL__N_121bessel_j1_kernel_cudaERNS_18TensorIteratorBaseEENKUlvE_clEvENKUlvE_clEvENKUldE_clEd.numbered_sgpr)
	.set _ZN2at6native29vectorized_elementwise_kernelILi4EZZZNS0_12_GLOBAL__N_121bessel_j1_kernel_cudaERNS_18TensorIteratorBaseEENKUlvE_clEvENKUlvE_clEvEUldE_St5arrayIPcLm2EEEEviT0_T1_.num_named_barrier, max(0, .L_ZZZZN2at6native12_GLOBAL__N_121bessel_j1_kernel_cudaERNS_18TensorIteratorBaseEENKUlvE_clEvENKUlvE_clEvENKUldE_clEd.num_named_barrier)
	.set _ZN2at6native29vectorized_elementwise_kernelILi4EZZZNS0_12_GLOBAL__N_121bessel_j1_kernel_cudaERNS_18TensorIteratorBaseEENKUlvE_clEvENKUlvE_clEvEUldE_St5arrayIPcLm2EEEEviT0_T1_.private_seg_size, 0+max(.L_ZZZZN2at6native12_GLOBAL__N_121bessel_j1_kernel_cudaERNS_18TensorIteratorBaseEENKUlvE_clEvENKUlvE_clEvENKUldE_clEd.private_seg_size)
	.set _ZN2at6native29vectorized_elementwise_kernelILi4EZZZNS0_12_GLOBAL__N_121bessel_j1_kernel_cudaERNS_18TensorIteratorBaseEENKUlvE_clEvENKUlvE_clEvEUldE_St5arrayIPcLm2EEEEviT0_T1_.uses_vcc, or(1, .L_ZZZZN2at6native12_GLOBAL__N_121bessel_j1_kernel_cudaERNS_18TensorIteratorBaseEENKUlvE_clEvENKUlvE_clEvENKUldE_clEd.uses_vcc)
	.set _ZN2at6native29vectorized_elementwise_kernelILi4EZZZNS0_12_GLOBAL__N_121bessel_j1_kernel_cudaERNS_18TensorIteratorBaseEENKUlvE_clEvENKUlvE_clEvEUldE_St5arrayIPcLm2EEEEviT0_T1_.uses_flat_scratch, or(0, .L_ZZZZN2at6native12_GLOBAL__N_121bessel_j1_kernel_cudaERNS_18TensorIteratorBaseEENKUlvE_clEvENKUlvE_clEvENKUldE_clEd.uses_flat_scratch)
	.set _ZN2at6native29vectorized_elementwise_kernelILi4EZZZNS0_12_GLOBAL__N_121bessel_j1_kernel_cudaERNS_18TensorIteratorBaseEENKUlvE_clEvENKUlvE_clEvEUldE_St5arrayIPcLm2EEEEviT0_T1_.has_dyn_sized_stack, or(0, .L_ZZZZN2at6native12_GLOBAL__N_121bessel_j1_kernel_cudaERNS_18TensorIteratorBaseEENKUlvE_clEvENKUlvE_clEvENKUldE_clEd.has_dyn_sized_stack)
	.set _ZN2at6native29vectorized_elementwise_kernelILi4EZZZNS0_12_GLOBAL__N_121bessel_j1_kernel_cudaERNS_18TensorIteratorBaseEENKUlvE_clEvENKUlvE_clEvEUldE_St5arrayIPcLm2EEEEviT0_T1_.has_recursion, or(0, .L_ZZZZN2at6native12_GLOBAL__N_121bessel_j1_kernel_cudaERNS_18TensorIteratorBaseEENKUlvE_clEvENKUlvE_clEvENKUldE_clEd.has_recursion)
	.set _ZN2at6native29vectorized_elementwise_kernelILi4EZZZNS0_12_GLOBAL__N_121bessel_j1_kernel_cudaERNS_18TensorIteratorBaseEENKUlvE_clEvENKUlvE_clEvEUldE_St5arrayIPcLm2EEEEviT0_T1_.has_indirect_call, or(0, .L_ZZZZN2at6native12_GLOBAL__N_121bessel_j1_kernel_cudaERNS_18TensorIteratorBaseEENKUlvE_clEvENKUlvE_clEvENKUldE_clEd.has_indirect_call)
	.section	.AMDGPU.csdata,"",@progbits
; Kernel info:
; codeLenInByte = 1120
; TotalNumSgprs: 52
; NumVgprs: 56
; ScratchSize: 0
; MemoryBound: 0
; FloatMode: 240
; IeeeMode: 1
; LDSByteSize: 0 bytes/workgroup (compile time only)
; SGPRBlocks: 6
; VGPRBlocks: 13
; NumSGPRsForWavesPerEU: 52
; NumVGPRsForWavesPerEU: 56
; Occupancy: 4
; WaveLimiterHint : 0
; COMPUTE_PGM_RSRC2:SCRATCH_EN: 0
; COMPUTE_PGM_RSRC2:USER_SGPR: 6
; COMPUTE_PGM_RSRC2:TRAP_HANDLER: 0
; COMPUTE_PGM_RSRC2:TGID_X_EN: 1
; COMPUTE_PGM_RSRC2:TGID_Y_EN: 0
; COMPUTE_PGM_RSRC2:TGID_Z_EN: 0
; COMPUTE_PGM_RSRC2:TIDIG_COMP_CNT: 0
	.section	.text._ZN2at6native29vectorized_elementwise_kernelILi2EZZZNS0_12_GLOBAL__N_121bessel_j1_kernel_cudaERNS_18TensorIteratorBaseEENKUlvE_clEvENKUlvE_clEvEUldE_St5arrayIPcLm2EEEEviT0_T1_,"axG",@progbits,_ZN2at6native29vectorized_elementwise_kernelILi2EZZZNS0_12_GLOBAL__N_121bessel_j1_kernel_cudaERNS_18TensorIteratorBaseEENKUlvE_clEvENKUlvE_clEvEUldE_St5arrayIPcLm2EEEEviT0_T1_,comdat
	.globl	_ZN2at6native29vectorized_elementwise_kernelILi2EZZZNS0_12_GLOBAL__N_121bessel_j1_kernel_cudaERNS_18TensorIteratorBaseEENKUlvE_clEvENKUlvE_clEvEUldE_St5arrayIPcLm2EEEEviT0_T1_ ; -- Begin function _ZN2at6native29vectorized_elementwise_kernelILi2EZZZNS0_12_GLOBAL__N_121bessel_j1_kernel_cudaERNS_18TensorIteratorBaseEENKUlvE_clEvENKUlvE_clEvEUldE_St5arrayIPcLm2EEEEviT0_T1_
	.p2align	8
	.type	_ZN2at6native29vectorized_elementwise_kernelILi2EZZZNS0_12_GLOBAL__N_121bessel_j1_kernel_cudaERNS_18TensorIteratorBaseEENKUlvE_clEvENKUlvE_clEvEUldE_St5arrayIPcLm2EEEEviT0_T1_,@function
_ZN2at6native29vectorized_elementwise_kernelILi2EZZZNS0_12_GLOBAL__N_121bessel_j1_kernel_cudaERNS_18TensorIteratorBaseEENKUlvE_clEvENKUlvE_clEvEUldE_St5arrayIPcLm2EEEEviT0_T1_: ; @_ZN2at6native29vectorized_elementwise_kernelILi2EZZZNS0_12_GLOBAL__N_121bessel_j1_kernel_cudaERNS_18TensorIteratorBaseEENKUlvE_clEvENKUlvE_clEvEUldE_St5arrayIPcLm2EEEEviT0_T1_
; %bb.0:
	s_add_u32 s0, s0, s7
	s_load_dword s7, s[4:5], 0x0
	s_load_dwordx4 s[36:39], s[4:5], 0x8
	s_addc_u32 s1, s1, 0
	s_lshl_b32 s44, s6, 10
	v_mov_b32_e32 v44, v0
	s_waitcnt lgkmcnt(0)
	s_sub_i32 s33, s7, s44
	s_cmpk_gt_i32 s33, 0x3ff
	s_mov_b64 s[4:5], -1
	s_mov_b32 s32, 0
	s_cbranch_scc0 .LBB4_2
; %bb.1:
	s_ashr_i32 s45, s44, 31
	s_lshl_b64 s[34:35], s[44:45], 3
	s_add_u32 s4, s38, s34
	s_addc_u32 s5, s39, s35
	v_lshlrev_b32_e32 v42, 4, v44
	v_mov_b32_e32 v0, s5
	v_add_co_u32_e32 v1, vcc, s4, v42
	v_addc_co_u32_e32 v2, vcc, 0, v0, vcc
	global_load_dwordx4 v[38:41], v42, s[4:5]
	v_add_co_u32_e32 v0, vcc, 0x1000, v1
	v_addc_co_u32_e32 v1, vcc, 0, v2, vcc
	global_load_dwordx4 v[45:48], v[0:1], off
	s_getpc_b64 s[46:47]
	s_add_u32 s46, s46, _ZZZZN2at6native12_GLOBAL__N_121bessel_j1_kernel_cudaERNS_18TensorIteratorBaseEENKUlvE_clEvENKUlvE_clEvENKUldE_clEd@rel32@lo+4
	s_addc_u32 s47, s47, _ZZZZN2at6native12_GLOBAL__N_121bessel_j1_kernel_cudaERNS_18TensorIteratorBaseEENKUlvE_clEvENKUlvE_clEvENKUldE_clEd@rel32@hi+12
	s_waitcnt vmcnt(1)
	v_mov_b32_e32 v0, v38
	v_mov_b32_e32 v1, v39
	s_swappc_b64 s[30:31], s[46:47]
	v_mov_b32_e32 v38, v0
	v_mov_b32_e32 v39, v1
	v_mov_b32_e32 v0, v40
	v_mov_b32_e32 v1, v41
	s_swappc_b64 s[30:31], s[46:47]
	v_mov_b32_e32 v40, v0
	v_mov_b32_e32 v41, v1
	;; [unrolled: 5-line block ×3, first 2 shown]
	v_mov_b32_e32 v0, v47
	v_mov_b32_e32 v1, v48
	s_swappc_b64 s[30:31], s[46:47]
	s_add_u32 s4, s36, s34
	s_addc_u32 s5, s37, s35
	v_mov_b32_e32 v47, v0
	v_mov_b32_e32 v48, v1
	;; [unrolled: 1-line block ×3, first 2 shown]
	v_add_co_u32_e32 v1, vcc, s4, v42
	v_addc_co_u32_e32 v2, vcc, 0, v0, vcc
	v_add_co_u32_e32 v0, vcc, 0x1000, v1
	v_addc_co_u32_e32 v1, vcc, 0, v2, vcc
	global_store_dwordx4 v42, v[38:41], s[4:5]
	global_store_dwordx4 v[0:1], v[45:48], off
	s_mov_b64 s[4:5], 0
.LBB4_2:
	s_andn2_b64 vcc, exec, s[4:5]
	s_cbranch_vccnz .LBB4_23
; %bb.3:
	v_mov_b32_e32 v38, 0
	v_mov_b32_e32 v0, 0
	v_cmp_gt_i32_e64 s[34:35], s33, v44
	v_mov_b32_e32 v39, 0
	v_or_b32_e32 v53, s44, v44
	v_mov_b32_e32 v1, 0
	v_mov_b32_e32 v2, v44
	s_and_saveexec_b64 s[4:5], s[34:35]
	s_cbranch_execz .LBB4_5
; %bb.4:
	v_mov_b32_e32 v54, 0
	v_lshlrev_b64 v[0:1], 3, v[53:54]
	v_mov_b32_e32 v2, s39
	v_add_co_u32_e32 v0, vcc, s38, v0
	v_addc_co_u32_e32 v1, vcc, v2, v1, vcc
	global_load_dwordx2 v[0:1], v[0:1], off
	v_or_b32_e32 v2, 0x100, v44
.LBB4_5:
	s_or_b64 exec, exec, s[4:5]
	v_cmp_gt_i32_e32 vcc, s33, v2
	s_and_saveexec_b64 s[4:5], vcc
	s_cbranch_execz .LBB4_7
; %bb.6:
	v_add_u32_e32 v3, s44, v2
	v_mov_b32_e32 v4, 0
	v_lshlrev_b64 v[3:4], 3, v[3:4]
	v_mov_b32_e32 v5, s39
	v_add_co_u32_e32 v3, vcc, s38, v3
	v_addc_co_u32_e32 v4, vcc, v5, v4, vcc
	global_load_dwordx2 v[38:39], v[3:4], off
	v_add_u32_e32 v2, 0x100, v2
.LBB4_7:
	s_or_b64 exec, exec, s[4:5]
	v_mov_b32_e32 v40, 0
	v_mov_b32_e32 v42, 0
	;; [unrolled: 1-line block ×4, first 2 shown]
	v_cmp_gt_i32_e32 vcc, s33, v2
	s_and_saveexec_b64 s[4:5], vcc
	s_cbranch_execz .LBB4_9
; %bb.8:
	v_add_u32_e32 v3, s44, v2
	v_mov_b32_e32 v4, 0
	v_lshlrev_b64 v[3:4], 3, v[3:4]
	v_mov_b32_e32 v5, s39
	v_add_co_u32_e32 v3, vcc, s38, v3
	v_addc_co_u32_e32 v4, vcc, v5, v4, vcc
	global_load_dwordx2 v[42:43], v[3:4], off
	v_add_u32_e32 v2, 0x100, v2
.LBB4_9:
	s_or_b64 exec, exec, s[4:5]
	v_cmp_gt_i32_e32 vcc, s33, v2
	s_and_saveexec_b64 s[4:5], vcc
	s_cbranch_execz .LBB4_11
; %bb.10:
	v_add_u32_e32 v2, s44, v2
	v_mov_b32_e32 v3, 0
	v_lshlrev_b64 v[2:3], 3, v[2:3]
	v_mov_b32_e32 v4, s39
	v_add_co_u32_e32 v2, vcc, s38, v2
	v_addc_co_u32_e32 v3, vcc, v4, v3, vcc
	global_load_dwordx2 v[40:41], v[2:3], off
.LBB4_11:
	s_or_b64 exec, exec, s[4:5]
	v_mov_b32_e32 v45, 0
	v_mov_b32_e32 v46, v45
	;; [unrolled: 1-line block ×8, first 2 shown]
	s_and_saveexec_b64 s[38:39], s[34:35]
	s_cbranch_execz .LBB4_13
; %bb.12:
	s_getpc_b64 s[4:5]
	s_add_u32 s4, s4, _ZZZZN2at6native12_GLOBAL__N_121bessel_j1_kernel_cudaERNS_18TensorIteratorBaseEENKUlvE_clEvENKUlvE_clEvENKUldE_clEd@rel32@lo+4
	s_addc_u32 s5, s5, _ZZZZN2at6native12_GLOBAL__N_121bessel_j1_kernel_cudaERNS_18TensorIteratorBaseEENKUlvE_clEvENKUlvE_clEvENKUldE_clEd@rel32@hi+12
	s_swappc_b64 s[30:31], s[4:5]
	v_mov_b32_e32 v7, v45
	v_mov_b32_e32 v2, v45
	;; [unrolled: 1-line block ×14, first 2 shown]
.LBB4_13:
	s_or_b64 exec, exec, s[38:39]
	v_or_b32_e32 v55, 0x100, v44
	v_cmp_gt_i32_e32 vcc, s33, v55
	s_and_saveexec_b64 s[38:39], vcc
	s_cbranch_execz .LBB4_15
; %bb.14:
	s_getpc_b64 s[4:5]
	s_add_u32 s4, s4, _ZZZZN2at6native12_GLOBAL__N_121bessel_j1_kernel_cudaERNS_18TensorIteratorBaseEENKUlvE_clEvENKUlvE_clEvENKUldE_clEd@rel32@lo+4
	s_addc_u32 s5, s5, _ZZZZN2at6native12_GLOBAL__N_121bessel_j1_kernel_cudaERNS_18TensorIteratorBaseEENKUlvE_clEvENKUlvE_clEvENKUldE_clEd@rel32@hi+12
	s_waitcnt vmcnt(0)
	v_mov_b32_e32 v0, v38
	v_mov_b32_e32 v1, v39
	s_swappc_b64 s[30:31], s[4:5]
	v_mov_b32_e32 v47, v0
	v_mov_b32_e32 v48, v1
.LBB4_15:
	s_or_b64 exec, exec, s[38:39]
	s_waitcnt vmcnt(0)
	v_or_b32_e32 v0, 0x200, v44
	v_cmp_gt_i32_e32 vcc, s33, v0
	s_and_saveexec_b64 s[38:39], vcc
	s_cbranch_execz .LBB4_17
; %bb.16:
	s_getpc_b64 s[4:5]
	s_add_u32 s4, s4, _ZZZZN2at6native12_GLOBAL__N_121bessel_j1_kernel_cudaERNS_18TensorIteratorBaseEENKUlvE_clEvENKUlvE_clEvENKUldE_clEd@rel32@lo+4
	s_addc_u32 s5, s5, _ZZZZN2at6native12_GLOBAL__N_121bessel_j1_kernel_cudaERNS_18TensorIteratorBaseEENKUlvE_clEvENKUlvE_clEvENKUldE_clEd@rel32@hi+12
	v_mov_b32_e32 v0, v42
	v_mov_b32_e32 v1, v43
	s_swappc_b64 s[30:31], s[4:5]
	v_mov_b32_e32 v49, v0
	v_mov_b32_e32 v50, v1
.LBB4_17:
	s_or_b64 exec, exec, s[38:39]
	v_or_b32_e32 v0, 0x300, v44
	v_cmp_gt_i32_e32 vcc, s33, v0
	s_and_saveexec_b64 s[38:39], vcc
	s_cbranch_execnz .LBB4_24
; %bb.18:
	s_or_b64 exec, exec, s[38:39]
	s_and_saveexec_b64 s[4:5], s[34:35]
	s_xor_b64 s[4:5], exec, s[4:5]
	s_cbranch_execnz .LBB4_25
.LBB4_19:
	s_or_b64 exec, exec, s[4:5]
	v_cmp_gt_i32_e32 vcc, s33, v44
	s_and_saveexec_b64 s[4:5], vcc
	s_cbranch_execnz .LBB4_26
.LBB4_20:
	s_or_b64 exec, exec, s[4:5]
	v_cmp_gt_i32_e32 vcc, s33, v44
	s_and_saveexec_b64 s[4:5], vcc
	s_cbranch_execnz .LBB4_27
.LBB4_21:
	s_or_b64 exec, exec, s[4:5]
	v_cmp_gt_i32_e32 vcc, s33, v44
	s_and_saveexec_b64 s[4:5], vcc
	s_cbranch_execz .LBB4_23
.LBB4_22:
	v_add_u32_e32 v0, s44, v44
	v_mov_b32_e32 v1, 0
	v_lshlrev_b64 v[0:1], 3, v[0:1]
	v_mov_b32_e32 v2, s37
	v_add_co_u32_e32 v0, vcc, s36, v0
	v_addc_co_u32_e32 v1, vcc, v2, v1, vcc
	global_store_dwordx2 v[0:1], v[51:52], off
.LBB4_23:
	s_endpgm
.LBB4_24:
	s_getpc_b64 s[4:5]
	s_add_u32 s4, s4, _ZZZZN2at6native12_GLOBAL__N_121bessel_j1_kernel_cudaERNS_18TensorIteratorBaseEENKUlvE_clEvENKUlvE_clEvENKUldE_clEd@rel32@lo+4
	s_addc_u32 s5, s5, _ZZZZN2at6native12_GLOBAL__N_121bessel_j1_kernel_cudaERNS_18TensorIteratorBaseEENKUlvE_clEvENKUlvE_clEvENKUldE_clEd@rel32@hi+12
	v_mov_b32_e32 v0, v40
	v_mov_b32_e32 v1, v41
	s_swappc_b64 s[30:31], s[4:5]
	v_mov_b32_e32 v51, v0
	v_mov_b32_e32 v52, v1
	s_or_b64 exec, exec, s[38:39]
	s_and_saveexec_b64 s[4:5], s[34:35]
	s_xor_b64 s[4:5], exec, s[4:5]
	s_cbranch_execz .LBB4_19
.LBB4_25:
	v_mov_b32_e32 v54, 0
	v_lshlrev_b64 v[0:1], 3, v[53:54]
	v_mov_b32_e32 v2, s37
	v_add_co_u32_e32 v0, vcc, s36, v0
	v_addc_co_u32_e32 v1, vcc, v2, v1, vcc
	v_mov_b32_e32 v44, v55
	global_store_dwordx2 v[0:1], v[45:46], off
	s_or_b64 exec, exec, s[4:5]
	v_cmp_gt_i32_e32 vcc, s33, v44
	s_and_saveexec_b64 s[4:5], vcc
	s_cbranch_execz .LBB4_20
.LBB4_26:
	v_add_u32_e32 v0, s44, v44
	v_mov_b32_e32 v1, 0
	v_lshlrev_b64 v[0:1], 3, v[0:1]
	v_mov_b32_e32 v2, s37
	v_add_co_u32_e32 v0, vcc, s36, v0
	v_addc_co_u32_e32 v1, vcc, v2, v1, vcc
	v_add_u32_e32 v44, 0x100, v44
	global_store_dwordx2 v[0:1], v[47:48], off
	s_or_b64 exec, exec, s[4:5]
	v_cmp_gt_i32_e32 vcc, s33, v44
	s_and_saveexec_b64 s[4:5], vcc
	s_cbranch_execz .LBB4_21
.LBB4_27:
	v_add_u32_e32 v0, s44, v44
	v_mov_b32_e32 v1, 0
	v_lshlrev_b64 v[0:1], 3, v[0:1]
	v_mov_b32_e32 v2, s37
	v_add_co_u32_e32 v0, vcc, s36, v0
	v_addc_co_u32_e32 v1, vcc, v2, v1, vcc
	v_add_u32_e32 v44, 0x100, v44
	global_store_dwordx2 v[0:1], v[49:50], off
	s_or_b64 exec, exec, s[4:5]
	v_cmp_gt_i32_e32 vcc, s33, v44
	s_and_saveexec_b64 s[4:5], vcc
	s_cbranch_execnz .LBB4_22
	s_branch .LBB4_23
	.section	.rodata,"a",@progbits
	.p2align	6, 0x0
	.amdhsa_kernel _ZN2at6native29vectorized_elementwise_kernelILi2EZZZNS0_12_GLOBAL__N_121bessel_j1_kernel_cudaERNS_18TensorIteratorBaseEENKUlvE_clEvENKUlvE_clEvEUldE_St5arrayIPcLm2EEEEviT0_T1_
		.amdhsa_group_segment_fixed_size 0
		.amdhsa_private_segment_fixed_size 0
		.amdhsa_kernarg_size 24
		.amdhsa_user_sgpr_count 6
		.amdhsa_user_sgpr_private_segment_buffer 1
		.amdhsa_user_sgpr_dispatch_ptr 0
		.amdhsa_user_sgpr_queue_ptr 0
		.amdhsa_user_sgpr_kernarg_segment_ptr 1
		.amdhsa_user_sgpr_dispatch_id 0
		.amdhsa_user_sgpr_flat_scratch_init 0
		.amdhsa_user_sgpr_private_segment_size 0
		.amdhsa_uses_dynamic_stack 0
		.amdhsa_system_sgpr_private_segment_wavefront_offset 0
		.amdhsa_system_sgpr_workgroup_id_x 1
		.amdhsa_system_sgpr_workgroup_id_y 0
		.amdhsa_system_sgpr_workgroup_id_z 0
		.amdhsa_system_sgpr_workgroup_info 0
		.amdhsa_system_vgpr_workitem_id 0
		.amdhsa_next_free_vgpr 56
		.amdhsa_next_free_sgpr 48
		.amdhsa_reserve_vcc 1
		.amdhsa_reserve_flat_scratch 0
		.amdhsa_float_round_mode_32 0
		.amdhsa_float_round_mode_16_64 0
		.amdhsa_float_denorm_mode_32 3
		.amdhsa_float_denorm_mode_16_64 3
		.amdhsa_dx10_clamp 1
		.amdhsa_ieee_mode 1
		.amdhsa_fp16_overflow 0
		.amdhsa_exception_fp_ieee_invalid_op 0
		.amdhsa_exception_fp_denorm_src 0
		.amdhsa_exception_fp_ieee_div_zero 0
		.amdhsa_exception_fp_ieee_overflow 0
		.amdhsa_exception_fp_ieee_underflow 0
		.amdhsa_exception_fp_ieee_inexact 0
		.amdhsa_exception_int_div_zero 0
	.end_amdhsa_kernel
	.section	.text._ZN2at6native29vectorized_elementwise_kernelILi2EZZZNS0_12_GLOBAL__N_121bessel_j1_kernel_cudaERNS_18TensorIteratorBaseEENKUlvE_clEvENKUlvE_clEvEUldE_St5arrayIPcLm2EEEEviT0_T1_,"axG",@progbits,_ZN2at6native29vectorized_elementwise_kernelILi2EZZZNS0_12_GLOBAL__N_121bessel_j1_kernel_cudaERNS_18TensorIteratorBaseEENKUlvE_clEvENKUlvE_clEvEUldE_St5arrayIPcLm2EEEEviT0_T1_,comdat
.Lfunc_end4:
	.size	_ZN2at6native29vectorized_elementwise_kernelILi2EZZZNS0_12_GLOBAL__N_121bessel_j1_kernel_cudaERNS_18TensorIteratorBaseEENKUlvE_clEvENKUlvE_clEvEUldE_St5arrayIPcLm2EEEEviT0_T1_, .Lfunc_end4-_ZN2at6native29vectorized_elementwise_kernelILi2EZZZNS0_12_GLOBAL__N_121bessel_j1_kernel_cudaERNS_18TensorIteratorBaseEENKUlvE_clEvENKUlvE_clEvEUldE_St5arrayIPcLm2EEEEviT0_T1_
                                        ; -- End function
	.set _ZN2at6native29vectorized_elementwise_kernelILi2EZZZNS0_12_GLOBAL__N_121bessel_j1_kernel_cudaERNS_18TensorIteratorBaseEENKUlvE_clEvENKUlvE_clEvEUldE_St5arrayIPcLm2EEEEviT0_T1_.num_vgpr, max(56, .L_ZZZZN2at6native12_GLOBAL__N_121bessel_j1_kernel_cudaERNS_18TensorIteratorBaseEENKUlvE_clEvENKUlvE_clEvENKUldE_clEd.num_vgpr)
	.set _ZN2at6native29vectorized_elementwise_kernelILi2EZZZNS0_12_GLOBAL__N_121bessel_j1_kernel_cudaERNS_18TensorIteratorBaseEENKUlvE_clEvENKUlvE_clEvEUldE_St5arrayIPcLm2EEEEviT0_T1_.num_agpr, max(0, .L_ZZZZN2at6native12_GLOBAL__N_121bessel_j1_kernel_cudaERNS_18TensorIteratorBaseEENKUlvE_clEvENKUlvE_clEvENKUldE_clEd.num_agpr)
	.set _ZN2at6native29vectorized_elementwise_kernelILi2EZZZNS0_12_GLOBAL__N_121bessel_j1_kernel_cudaERNS_18TensorIteratorBaseEENKUlvE_clEvENKUlvE_clEvEUldE_St5arrayIPcLm2EEEEviT0_T1_.numbered_sgpr, max(48, .L_ZZZZN2at6native12_GLOBAL__N_121bessel_j1_kernel_cudaERNS_18TensorIteratorBaseEENKUlvE_clEvENKUlvE_clEvENKUldE_clEd.numbered_sgpr)
	.set _ZN2at6native29vectorized_elementwise_kernelILi2EZZZNS0_12_GLOBAL__N_121bessel_j1_kernel_cudaERNS_18TensorIteratorBaseEENKUlvE_clEvENKUlvE_clEvEUldE_St5arrayIPcLm2EEEEviT0_T1_.num_named_barrier, max(0, .L_ZZZZN2at6native12_GLOBAL__N_121bessel_j1_kernel_cudaERNS_18TensorIteratorBaseEENKUlvE_clEvENKUlvE_clEvENKUldE_clEd.num_named_barrier)
	.set _ZN2at6native29vectorized_elementwise_kernelILi2EZZZNS0_12_GLOBAL__N_121bessel_j1_kernel_cudaERNS_18TensorIteratorBaseEENKUlvE_clEvENKUlvE_clEvEUldE_St5arrayIPcLm2EEEEviT0_T1_.private_seg_size, 0+max(.L_ZZZZN2at6native12_GLOBAL__N_121bessel_j1_kernel_cudaERNS_18TensorIteratorBaseEENKUlvE_clEvENKUlvE_clEvENKUldE_clEd.private_seg_size)
	.set _ZN2at6native29vectorized_elementwise_kernelILi2EZZZNS0_12_GLOBAL__N_121bessel_j1_kernel_cudaERNS_18TensorIteratorBaseEENKUlvE_clEvENKUlvE_clEvEUldE_St5arrayIPcLm2EEEEviT0_T1_.uses_vcc, or(1, .L_ZZZZN2at6native12_GLOBAL__N_121bessel_j1_kernel_cudaERNS_18TensorIteratorBaseEENKUlvE_clEvENKUlvE_clEvENKUldE_clEd.uses_vcc)
	.set _ZN2at6native29vectorized_elementwise_kernelILi2EZZZNS0_12_GLOBAL__N_121bessel_j1_kernel_cudaERNS_18TensorIteratorBaseEENKUlvE_clEvENKUlvE_clEvEUldE_St5arrayIPcLm2EEEEviT0_T1_.uses_flat_scratch, or(0, .L_ZZZZN2at6native12_GLOBAL__N_121bessel_j1_kernel_cudaERNS_18TensorIteratorBaseEENKUlvE_clEvENKUlvE_clEvENKUldE_clEd.uses_flat_scratch)
	.set _ZN2at6native29vectorized_elementwise_kernelILi2EZZZNS0_12_GLOBAL__N_121bessel_j1_kernel_cudaERNS_18TensorIteratorBaseEENKUlvE_clEvENKUlvE_clEvEUldE_St5arrayIPcLm2EEEEviT0_T1_.has_dyn_sized_stack, or(0, .L_ZZZZN2at6native12_GLOBAL__N_121bessel_j1_kernel_cudaERNS_18TensorIteratorBaseEENKUlvE_clEvENKUlvE_clEvENKUldE_clEd.has_dyn_sized_stack)
	.set _ZN2at6native29vectorized_elementwise_kernelILi2EZZZNS0_12_GLOBAL__N_121bessel_j1_kernel_cudaERNS_18TensorIteratorBaseEENKUlvE_clEvENKUlvE_clEvEUldE_St5arrayIPcLm2EEEEviT0_T1_.has_recursion, or(0, .L_ZZZZN2at6native12_GLOBAL__N_121bessel_j1_kernel_cudaERNS_18TensorIteratorBaseEENKUlvE_clEvENKUlvE_clEvENKUldE_clEd.has_recursion)
	.set _ZN2at6native29vectorized_elementwise_kernelILi2EZZZNS0_12_GLOBAL__N_121bessel_j1_kernel_cudaERNS_18TensorIteratorBaseEENKUlvE_clEvENKUlvE_clEvEUldE_St5arrayIPcLm2EEEEviT0_T1_.has_indirect_call, or(0, .L_ZZZZN2at6native12_GLOBAL__N_121bessel_j1_kernel_cudaERNS_18TensorIteratorBaseEENKUlvE_clEvENKUlvE_clEvENKUldE_clEd.has_indirect_call)
	.section	.AMDGPU.csdata,"",@progbits
; Kernel info:
; codeLenInByte = 1168
; TotalNumSgprs: 52
; NumVgprs: 56
; ScratchSize: 0
; MemoryBound: 0
; FloatMode: 240
; IeeeMode: 1
; LDSByteSize: 0 bytes/workgroup (compile time only)
; SGPRBlocks: 6
; VGPRBlocks: 13
; NumSGPRsForWavesPerEU: 52
; NumVGPRsForWavesPerEU: 56
; Occupancy: 4
; WaveLimiterHint : 1
; COMPUTE_PGM_RSRC2:SCRATCH_EN: 0
; COMPUTE_PGM_RSRC2:USER_SGPR: 6
; COMPUTE_PGM_RSRC2:TRAP_HANDLER: 0
; COMPUTE_PGM_RSRC2:TGID_X_EN: 1
; COMPUTE_PGM_RSRC2:TGID_Y_EN: 0
; COMPUTE_PGM_RSRC2:TGID_Z_EN: 0
; COMPUTE_PGM_RSRC2:TIDIG_COMP_CNT: 0
	.section	.text._ZN2at6native27unrolled_elementwise_kernelIZZZNS0_12_GLOBAL__N_121bessel_j1_kernel_cudaERNS_18TensorIteratorBaseEENKUlvE_clEvENKUlvE_clEvEUldE_St5arrayIPcLm2EELi4E23TrivialOffsetCalculatorILi1EjESC_NS0_6memory15LoadWithoutCastENSD_16StoreWithoutCastEEEviT_T0_T2_T3_T4_T5_,"axG",@progbits,_ZN2at6native27unrolled_elementwise_kernelIZZZNS0_12_GLOBAL__N_121bessel_j1_kernel_cudaERNS_18TensorIteratorBaseEENKUlvE_clEvENKUlvE_clEvEUldE_St5arrayIPcLm2EELi4E23TrivialOffsetCalculatorILi1EjESC_NS0_6memory15LoadWithoutCastENSD_16StoreWithoutCastEEEviT_T0_T2_T3_T4_T5_,comdat
	.globl	_ZN2at6native27unrolled_elementwise_kernelIZZZNS0_12_GLOBAL__N_121bessel_j1_kernel_cudaERNS_18TensorIteratorBaseEENKUlvE_clEvENKUlvE_clEvEUldE_St5arrayIPcLm2EELi4E23TrivialOffsetCalculatorILi1EjESC_NS0_6memory15LoadWithoutCastENSD_16StoreWithoutCastEEEviT_T0_T2_T3_T4_T5_ ; -- Begin function _ZN2at6native27unrolled_elementwise_kernelIZZZNS0_12_GLOBAL__N_121bessel_j1_kernel_cudaERNS_18TensorIteratorBaseEENKUlvE_clEvENKUlvE_clEvEUldE_St5arrayIPcLm2EELi4E23TrivialOffsetCalculatorILi1EjESC_NS0_6memory15LoadWithoutCastENSD_16StoreWithoutCastEEEviT_T0_T2_T3_T4_T5_
	.p2align	8
	.type	_ZN2at6native27unrolled_elementwise_kernelIZZZNS0_12_GLOBAL__N_121bessel_j1_kernel_cudaERNS_18TensorIteratorBaseEENKUlvE_clEvENKUlvE_clEvEUldE_St5arrayIPcLm2EELi4E23TrivialOffsetCalculatorILi1EjESC_NS0_6memory15LoadWithoutCastENSD_16StoreWithoutCastEEEviT_T0_T2_T3_T4_T5_,@function
_ZN2at6native27unrolled_elementwise_kernelIZZZNS0_12_GLOBAL__N_121bessel_j1_kernel_cudaERNS_18TensorIteratorBaseEENKUlvE_clEvENKUlvE_clEvEUldE_St5arrayIPcLm2EELi4E23TrivialOffsetCalculatorILi1EjESC_NS0_6memory15LoadWithoutCastENSD_16StoreWithoutCastEEEviT_T0_T2_T3_T4_T5_: ; @_ZN2at6native27unrolled_elementwise_kernelIZZZNS0_12_GLOBAL__N_121bessel_j1_kernel_cudaERNS_18TensorIteratorBaseEENKUlvE_clEvENKUlvE_clEvEUldE_St5arrayIPcLm2EELi4E23TrivialOffsetCalculatorILi1EjESC_NS0_6memory15LoadWithoutCastENSD_16StoreWithoutCastEEEviT_T0_T2_T3_T4_T5_
; %bb.0:
	s_add_u32 s0, s0, s7
	s_load_dword s7, s[4:5], 0x0
	s_load_dwordx4 s[36:39], s[4:5], 0x8
	s_addc_u32 s1, s1, 0
	s_lshl_b32 s33, s6, 10
	v_mov_b32_e32 v44, v0
	s_waitcnt lgkmcnt(0)
	s_sub_i32 s44, s7, s33
	v_mov_b32_e32 v38, 0
	v_mov_b32_e32 v0, 0
	v_cmp_gt_i32_e64 s[34:35], s44, v44
	v_mov_b32_e32 v39, 0
	v_or_b32_e32 v53, s33, v44
	v_mov_b32_e32 v1, 0
	v_mov_b32_e32 v2, v44
	s_mov_b32 s32, 0
	s_and_saveexec_b64 s[4:5], s[34:35]
	s_cbranch_execz .LBB5_2
; %bb.1:
	v_mov_b32_e32 v54, 0
	v_lshlrev_b64 v[0:1], 3, v[53:54]
	v_mov_b32_e32 v2, s39
	v_add_co_u32_e32 v0, vcc, s38, v0
	v_addc_co_u32_e32 v1, vcc, v2, v1, vcc
	global_load_dwordx2 v[0:1], v[0:1], off
	v_or_b32_e32 v2, 0x100, v44
.LBB5_2:
	s_or_b64 exec, exec, s[4:5]
	v_cmp_gt_i32_e32 vcc, s44, v2
	s_and_saveexec_b64 s[4:5], vcc
	s_cbranch_execz .LBB5_4
; %bb.3:
	v_add_u32_e32 v3, s33, v2
	v_mov_b32_e32 v4, 0
	v_lshlrev_b64 v[3:4], 3, v[3:4]
	v_mov_b32_e32 v5, s39
	v_add_co_u32_e32 v3, vcc, s38, v3
	v_addc_co_u32_e32 v4, vcc, v5, v4, vcc
	global_load_dwordx2 v[38:39], v[3:4], off
	v_add_u32_e32 v2, 0x100, v2
.LBB5_4:
	s_or_b64 exec, exec, s[4:5]
	v_mov_b32_e32 v40, 0
	v_mov_b32_e32 v42, 0
	;; [unrolled: 1-line block ×4, first 2 shown]
	v_cmp_gt_i32_e32 vcc, s44, v2
	s_and_saveexec_b64 s[4:5], vcc
	s_cbranch_execz .LBB5_6
; %bb.5:
	v_add_u32_e32 v3, s33, v2
	v_mov_b32_e32 v4, 0
	v_lshlrev_b64 v[3:4], 3, v[3:4]
	v_mov_b32_e32 v5, s39
	v_add_co_u32_e32 v3, vcc, s38, v3
	v_addc_co_u32_e32 v4, vcc, v5, v4, vcc
	global_load_dwordx2 v[42:43], v[3:4], off
	v_add_u32_e32 v2, 0x100, v2
.LBB5_6:
	s_or_b64 exec, exec, s[4:5]
	v_cmp_gt_i32_e32 vcc, s44, v2
	s_and_saveexec_b64 s[4:5], vcc
	s_cbranch_execz .LBB5_8
; %bb.7:
	v_add_u32_e32 v2, s33, v2
	v_mov_b32_e32 v3, 0
	v_lshlrev_b64 v[2:3], 3, v[2:3]
	v_mov_b32_e32 v4, s39
	v_add_co_u32_e32 v2, vcc, s38, v2
	v_addc_co_u32_e32 v3, vcc, v4, v3, vcc
	global_load_dwordx2 v[40:41], v[2:3], off
.LBB5_8:
	s_or_b64 exec, exec, s[4:5]
	v_mov_b32_e32 v45, 0
	v_mov_b32_e32 v46, v45
	;; [unrolled: 1-line block ×8, first 2 shown]
	s_and_saveexec_b64 s[38:39], s[34:35]
	s_cbranch_execz .LBB5_10
; %bb.9:
	s_getpc_b64 s[4:5]
	s_add_u32 s4, s4, _ZZZZN2at6native12_GLOBAL__N_121bessel_j1_kernel_cudaERNS_18TensorIteratorBaseEENKUlvE_clEvENKUlvE_clEvENKUldE_clEd@rel32@lo+4
	s_addc_u32 s5, s5, _ZZZZN2at6native12_GLOBAL__N_121bessel_j1_kernel_cudaERNS_18TensorIteratorBaseEENKUlvE_clEvENKUlvE_clEvENKUldE_clEd@rel32@hi+12
	s_swappc_b64 s[30:31], s[4:5]
	v_mov_b32_e32 v7, v45
	v_mov_b32_e32 v2, v45
	;; [unrolled: 1-line block ×14, first 2 shown]
.LBB5_10:
	s_or_b64 exec, exec, s[38:39]
	v_or_b32_e32 v55, 0x100, v44
	v_cmp_gt_i32_e32 vcc, s44, v55
	s_and_saveexec_b64 s[38:39], vcc
	s_cbranch_execz .LBB5_12
; %bb.11:
	s_getpc_b64 s[4:5]
	s_add_u32 s4, s4, _ZZZZN2at6native12_GLOBAL__N_121bessel_j1_kernel_cudaERNS_18TensorIteratorBaseEENKUlvE_clEvENKUlvE_clEvENKUldE_clEd@rel32@lo+4
	s_addc_u32 s5, s5, _ZZZZN2at6native12_GLOBAL__N_121bessel_j1_kernel_cudaERNS_18TensorIteratorBaseEENKUlvE_clEvENKUlvE_clEvENKUldE_clEd@rel32@hi+12
	s_waitcnt vmcnt(0)
	v_mov_b32_e32 v0, v38
	v_mov_b32_e32 v1, v39
	s_swappc_b64 s[30:31], s[4:5]
	v_mov_b32_e32 v47, v0
	v_mov_b32_e32 v48, v1
.LBB5_12:
	s_or_b64 exec, exec, s[38:39]
	s_waitcnt vmcnt(0)
	v_or_b32_e32 v0, 0x200, v44
	v_cmp_gt_i32_e32 vcc, s44, v0
	s_and_saveexec_b64 s[38:39], vcc
	s_cbranch_execz .LBB5_14
; %bb.13:
	s_getpc_b64 s[4:5]
	s_add_u32 s4, s4, _ZZZZN2at6native12_GLOBAL__N_121bessel_j1_kernel_cudaERNS_18TensorIteratorBaseEENKUlvE_clEvENKUlvE_clEvENKUldE_clEd@rel32@lo+4
	s_addc_u32 s5, s5, _ZZZZN2at6native12_GLOBAL__N_121bessel_j1_kernel_cudaERNS_18TensorIteratorBaseEENKUlvE_clEvENKUlvE_clEvENKUldE_clEd@rel32@hi+12
	v_mov_b32_e32 v0, v42
	v_mov_b32_e32 v1, v43
	s_swappc_b64 s[30:31], s[4:5]
	v_mov_b32_e32 v49, v0
	v_mov_b32_e32 v50, v1
.LBB5_14:
	s_or_b64 exec, exec, s[38:39]
	v_or_b32_e32 v0, 0x300, v44
	v_cmp_gt_i32_e32 vcc, s44, v0
	s_and_saveexec_b64 s[38:39], vcc
	s_cbranch_execnz .LBB5_20
; %bb.15:
	s_or_b64 exec, exec, s[38:39]
	s_and_saveexec_b64 s[4:5], s[34:35]
	s_xor_b64 s[4:5], exec, s[4:5]
	s_cbranch_execnz .LBB5_21
.LBB5_16:
	s_or_b64 exec, exec, s[4:5]
	v_cmp_gt_i32_e32 vcc, s44, v44
	s_and_saveexec_b64 s[4:5], vcc
	s_cbranch_execnz .LBB5_22
.LBB5_17:
	s_or_b64 exec, exec, s[4:5]
	v_cmp_gt_i32_e32 vcc, s44, v44
	s_and_saveexec_b64 s[4:5], vcc
	s_cbranch_execnz .LBB5_23
.LBB5_18:
	s_or_b64 exec, exec, s[4:5]
	v_cmp_gt_i32_e32 vcc, s44, v44
	s_and_saveexec_b64 s[4:5], vcc
	s_cbranch_execnz .LBB5_24
.LBB5_19:
	s_endpgm
.LBB5_20:
	s_getpc_b64 s[4:5]
	s_add_u32 s4, s4, _ZZZZN2at6native12_GLOBAL__N_121bessel_j1_kernel_cudaERNS_18TensorIteratorBaseEENKUlvE_clEvENKUlvE_clEvENKUldE_clEd@rel32@lo+4
	s_addc_u32 s5, s5, _ZZZZN2at6native12_GLOBAL__N_121bessel_j1_kernel_cudaERNS_18TensorIteratorBaseEENKUlvE_clEvENKUlvE_clEvENKUldE_clEd@rel32@hi+12
	v_mov_b32_e32 v0, v40
	v_mov_b32_e32 v1, v41
	s_swappc_b64 s[30:31], s[4:5]
	v_mov_b32_e32 v51, v0
	v_mov_b32_e32 v52, v1
	s_or_b64 exec, exec, s[38:39]
	s_and_saveexec_b64 s[4:5], s[34:35]
	s_xor_b64 s[4:5], exec, s[4:5]
	s_cbranch_execz .LBB5_16
.LBB5_21:
	v_mov_b32_e32 v54, 0
	v_lshlrev_b64 v[0:1], 3, v[53:54]
	v_mov_b32_e32 v2, s37
	v_add_co_u32_e32 v0, vcc, s36, v0
	v_addc_co_u32_e32 v1, vcc, v2, v1, vcc
	v_mov_b32_e32 v44, v55
	global_store_dwordx2 v[0:1], v[45:46], off
	s_or_b64 exec, exec, s[4:5]
	v_cmp_gt_i32_e32 vcc, s44, v44
	s_and_saveexec_b64 s[4:5], vcc
	s_cbranch_execz .LBB5_17
.LBB5_22:
	v_add_u32_e32 v0, s33, v44
	v_mov_b32_e32 v1, 0
	v_lshlrev_b64 v[0:1], 3, v[0:1]
	v_add_u32_e32 v2, 0x100, v44
	v_mov_b32_e32 v3, s37
	v_add_co_u32_e32 v0, vcc, s36, v0
	v_addc_co_u32_e32 v1, vcc, v3, v1, vcc
	v_mov_b32_e32 v44, v2
	global_store_dwordx2 v[0:1], v[47:48], off
	s_or_b64 exec, exec, s[4:5]
	v_cmp_gt_i32_e32 vcc, s44, v44
	s_and_saveexec_b64 s[4:5], vcc
	s_cbranch_execz .LBB5_18
.LBB5_23:
	v_add_u32_e32 v0, s33, v44
	v_mov_b32_e32 v1, 0
	v_lshlrev_b64 v[0:1], 3, v[0:1]
	v_add_u32_e32 v2, 0x100, v44
	v_mov_b32_e32 v3, s37
	v_add_co_u32_e32 v0, vcc, s36, v0
	v_addc_co_u32_e32 v1, vcc, v3, v1, vcc
	v_mov_b32_e32 v44, v2
	global_store_dwordx2 v[0:1], v[49:50], off
	s_or_b64 exec, exec, s[4:5]
	v_cmp_gt_i32_e32 vcc, s44, v44
	s_and_saveexec_b64 s[4:5], vcc
	s_cbranch_execz .LBB5_19
.LBB5_24:
	v_add_u32_e32 v0, s33, v44
	v_mov_b32_e32 v1, 0
	v_lshlrev_b64 v[0:1], 3, v[0:1]
	v_mov_b32_e32 v2, s37
	v_add_co_u32_e32 v0, vcc, s36, v0
	v_addc_co_u32_e32 v1, vcc, v2, v1, vcc
	global_store_dwordx2 v[0:1], v[51:52], off
	s_endpgm
	.section	.rodata,"a",@progbits
	.p2align	6, 0x0
	.amdhsa_kernel _ZN2at6native27unrolled_elementwise_kernelIZZZNS0_12_GLOBAL__N_121bessel_j1_kernel_cudaERNS_18TensorIteratorBaseEENKUlvE_clEvENKUlvE_clEvEUldE_St5arrayIPcLm2EELi4E23TrivialOffsetCalculatorILi1EjESC_NS0_6memory15LoadWithoutCastENSD_16StoreWithoutCastEEEviT_T0_T2_T3_T4_T5_
		.amdhsa_group_segment_fixed_size 0
		.amdhsa_private_segment_fixed_size 0
		.amdhsa_kernarg_size 28
		.amdhsa_user_sgpr_count 6
		.amdhsa_user_sgpr_private_segment_buffer 1
		.amdhsa_user_sgpr_dispatch_ptr 0
		.amdhsa_user_sgpr_queue_ptr 0
		.amdhsa_user_sgpr_kernarg_segment_ptr 1
		.amdhsa_user_sgpr_dispatch_id 0
		.amdhsa_user_sgpr_flat_scratch_init 0
		.amdhsa_user_sgpr_private_segment_size 0
		.amdhsa_uses_dynamic_stack 0
		.amdhsa_system_sgpr_private_segment_wavefront_offset 0
		.amdhsa_system_sgpr_workgroup_id_x 1
		.amdhsa_system_sgpr_workgroup_id_y 0
		.amdhsa_system_sgpr_workgroup_id_z 0
		.amdhsa_system_sgpr_workgroup_info 0
		.amdhsa_system_vgpr_workitem_id 0
		.amdhsa_next_free_vgpr 56
		.amdhsa_next_free_sgpr 45
		.amdhsa_reserve_vcc 1
		.amdhsa_reserve_flat_scratch 0
		.amdhsa_float_round_mode_32 0
		.amdhsa_float_round_mode_16_64 0
		.amdhsa_float_denorm_mode_32 3
		.amdhsa_float_denorm_mode_16_64 3
		.amdhsa_dx10_clamp 1
		.amdhsa_ieee_mode 1
		.amdhsa_fp16_overflow 0
		.amdhsa_exception_fp_ieee_invalid_op 0
		.amdhsa_exception_fp_denorm_src 0
		.amdhsa_exception_fp_ieee_div_zero 0
		.amdhsa_exception_fp_ieee_overflow 0
		.amdhsa_exception_fp_ieee_underflow 0
		.amdhsa_exception_fp_ieee_inexact 0
		.amdhsa_exception_int_div_zero 0
	.end_amdhsa_kernel
	.section	.text._ZN2at6native27unrolled_elementwise_kernelIZZZNS0_12_GLOBAL__N_121bessel_j1_kernel_cudaERNS_18TensorIteratorBaseEENKUlvE_clEvENKUlvE_clEvEUldE_St5arrayIPcLm2EELi4E23TrivialOffsetCalculatorILi1EjESC_NS0_6memory15LoadWithoutCastENSD_16StoreWithoutCastEEEviT_T0_T2_T3_T4_T5_,"axG",@progbits,_ZN2at6native27unrolled_elementwise_kernelIZZZNS0_12_GLOBAL__N_121bessel_j1_kernel_cudaERNS_18TensorIteratorBaseEENKUlvE_clEvENKUlvE_clEvEUldE_St5arrayIPcLm2EELi4E23TrivialOffsetCalculatorILi1EjESC_NS0_6memory15LoadWithoutCastENSD_16StoreWithoutCastEEEviT_T0_T2_T3_T4_T5_,comdat
.Lfunc_end5:
	.size	_ZN2at6native27unrolled_elementwise_kernelIZZZNS0_12_GLOBAL__N_121bessel_j1_kernel_cudaERNS_18TensorIteratorBaseEENKUlvE_clEvENKUlvE_clEvEUldE_St5arrayIPcLm2EELi4E23TrivialOffsetCalculatorILi1EjESC_NS0_6memory15LoadWithoutCastENSD_16StoreWithoutCastEEEviT_T0_T2_T3_T4_T5_, .Lfunc_end5-_ZN2at6native27unrolled_elementwise_kernelIZZZNS0_12_GLOBAL__N_121bessel_j1_kernel_cudaERNS_18TensorIteratorBaseEENKUlvE_clEvENKUlvE_clEvEUldE_St5arrayIPcLm2EELi4E23TrivialOffsetCalculatorILi1EjESC_NS0_6memory15LoadWithoutCastENSD_16StoreWithoutCastEEEviT_T0_T2_T3_T4_T5_
                                        ; -- End function
	.set _ZN2at6native27unrolled_elementwise_kernelIZZZNS0_12_GLOBAL__N_121bessel_j1_kernel_cudaERNS_18TensorIteratorBaseEENKUlvE_clEvENKUlvE_clEvEUldE_St5arrayIPcLm2EELi4E23TrivialOffsetCalculatorILi1EjESC_NS0_6memory15LoadWithoutCastENSD_16StoreWithoutCastEEEviT_T0_T2_T3_T4_T5_.num_vgpr, max(56, .L_ZZZZN2at6native12_GLOBAL__N_121bessel_j1_kernel_cudaERNS_18TensorIteratorBaseEENKUlvE_clEvENKUlvE_clEvENKUldE_clEd.num_vgpr)
	.set _ZN2at6native27unrolled_elementwise_kernelIZZZNS0_12_GLOBAL__N_121bessel_j1_kernel_cudaERNS_18TensorIteratorBaseEENKUlvE_clEvENKUlvE_clEvEUldE_St5arrayIPcLm2EELi4E23TrivialOffsetCalculatorILi1EjESC_NS0_6memory15LoadWithoutCastENSD_16StoreWithoutCastEEEviT_T0_T2_T3_T4_T5_.num_agpr, max(0, .L_ZZZZN2at6native12_GLOBAL__N_121bessel_j1_kernel_cudaERNS_18TensorIteratorBaseEENKUlvE_clEvENKUlvE_clEvENKUldE_clEd.num_agpr)
	.set _ZN2at6native27unrolled_elementwise_kernelIZZZNS0_12_GLOBAL__N_121bessel_j1_kernel_cudaERNS_18TensorIteratorBaseEENKUlvE_clEvENKUlvE_clEvEUldE_St5arrayIPcLm2EELi4E23TrivialOffsetCalculatorILi1EjESC_NS0_6memory15LoadWithoutCastENSD_16StoreWithoutCastEEEviT_T0_T2_T3_T4_T5_.numbered_sgpr, max(45, .L_ZZZZN2at6native12_GLOBAL__N_121bessel_j1_kernel_cudaERNS_18TensorIteratorBaseEENKUlvE_clEvENKUlvE_clEvENKUldE_clEd.numbered_sgpr)
	.set _ZN2at6native27unrolled_elementwise_kernelIZZZNS0_12_GLOBAL__N_121bessel_j1_kernel_cudaERNS_18TensorIteratorBaseEENKUlvE_clEvENKUlvE_clEvEUldE_St5arrayIPcLm2EELi4E23TrivialOffsetCalculatorILi1EjESC_NS0_6memory15LoadWithoutCastENSD_16StoreWithoutCastEEEviT_T0_T2_T3_T4_T5_.num_named_barrier, max(0, .L_ZZZZN2at6native12_GLOBAL__N_121bessel_j1_kernel_cudaERNS_18TensorIteratorBaseEENKUlvE_clEvENKUlvE_clEvENKUldE_clEd.num_named_barrier)
	.set _ZN2at6native27unrolled_elementwise_kernelIZZZNS0_12_GLOBAL__N_121bessel_j1_kernel_cudaERNS_18TensorIteratorBaseEENKUlvE_clEvENKUlvE_clEvEUldE_St5arrayIPcLm2EELi4E23TrivialOffsetCalculatorILi1EjESC_NS0_6memory15LoadWithoutCastENSD_16StoreWithoutCastEEEviT_T0_T2_T3_T4_T5_.private_seg_size, 0+max(.L_ZZZZN2at6native12_GLOBAL__N_121bessel_j1_kernel_cudaERNS_18TensorIteratorBaseEENKUlvE_clEvENKUlvE_clEvENKUldE_clEd.private_seg_size)
	.set _ZN2at6native27unrolled_elementwise_kernelIZZZNS0_12_GLOBAL__N_121bessel_j1_kernel_cudaERNS_18TensorIteratorBaseEENKUlvE_clEvENKUlvE_clEvEUldE_St5arrayIPcLm2EELi4E23TrivialOffsetCalculatorILi1EjESC_NS0_6memory15LoadWithoutCastENSD_16StoreWithoutCastEEEviT_T0_T2_T3_T4_T5_.uses_vcc, or(1, .L_ZZZZN2at6native12_GLOBAL__N_121bessel_j1_kernel_cudaERNS_18TensorIteratorBaseEENKUlvE_clEvENKUlvE_clEvENKUldE_clEd.uses_vcc)
	.set _ZN2at6native27unrolled_elementwise_kernelIZZZNS0_12_GLOBAL__N_121bessel_j1_kernel_cudaERNS_18TensorIteratorBaseEENKUlvE_clEvENKUlvE_clEvEUldE_St5arrayIPcLm2EELi4E23TrivialOffsetCalculatorILi1EjESC_NS0_6memory15LoadWithoutCastENSD_16StoreWithoutCastEEEviT_T0_T2_T3_T4_T5_.uses_flat_scratch, or(0, .L_ZZZZN2at6native12_GLOBAL__N_121bessel_j1_kernel_cudaERNS_18TensorIteratorBaseEENKUlvE_clEvENKUlvE_clEvENKUldE_clEd.uses_flat_scratch)
	.set _ZN2at6native27unrolled_elementwise_kernelIZZZNS0_12_GLOBAL__N_121bessel_j1_kernel_cudaERNS_18TensorIteratorBaseEENKUlvE_clEvENKUlvE_clEvEUldE_St5arrayIPcLm2EELi4E23TrivialOffsetCalculatorILi1EjESC_NS0_6memory15LoadWithoutCastENSD_16StoreWithoutCastEEEviT_T0_T2_T3_T4_T5_.has_dyn_sized_stack, or(0, .L_ZZZZN2at6native12_GLOBAL__N_121bessel_j1_kernel_cudaERNS_18TensorIteratorBaseEENKUlvE_clEvENKUlvE_clEvENKUldE_clEd.has_dyn_sized_stack)
	.set _ZN2at6native27unrolled_elementwise_kernelIZZZNS0_12_GLOBAL__N_121bessel_j1_kernel_cudaERNS_18TensorIteratorBaseEENKUlvE_clEvENKUlvE_clEvEUldE_St5arrayIPcLm2EELi4E23TrivialOffsetCalculatorILi1EjESC_NS0_6memory15LoadWithoutCastENSD_16StoreWithoutCastEEEviT_T0_T2_T3_T4_T5_.has_recursion, or(0, .L_ZZZZN2at6native12_GLOBAL__N_121bessel_j1_kernel_cudaERNS_18TensorIteratorBaseEENKUlvE_clEvENKUlvE_clEvENKUldE_clEd.has_recursion)
	.set _ZN2at6native27unrolled_elementwise_kernelIZZZNS0_12_GLOBAL__N_121bessel_j1_kernel_cudaERNS_18TensorIteratorBaseEENKUlvE_clEvENKUlvE_clEvEUldE_St5arrayIPcLm2EELi4E23TrivialOffsetCalculatorILi1EjESC_NS0_6memory15LoadWithoutCastENSD_16StoreWithoutCastEEEviT_T0_T2_T3_T4_T5_.has_indirect_call, or(0, .L_ZZZZN2at6native12_GLOBAL__N_121bessel_j1_kernel_cudaERNS_18TensorIteratorBaseEENKUlvE_clEvENKUlvE_clEvENKUldE_clEd.has_indirect_call)
	.section	.AMDGPU.csdata,"",@progbits
; Kernel info:
; codeLenInByte = 940
; TotalNumSgprs: 49
; NumVgprs: 56
; ScratchSize: 0
; MemoryBound: 0
; FloatMode: 240
; IeeeMode: 1
; LDSByteSize: 0 bytes/workgroup (compile time only)
; SGPRBlocks: 6
; VGPRBlocks: 13
; NumSGPRsForWavesPerEU: 49
; NumVGPRsForWavesPerEU: 56
; Occupancy: 4
; WaveLimiterHint : 0
; COMPUTE_PGM_RSRC2:SCRATCH_EN: 0
; COMPUTE_PGM_RSRC2:USER_SGPR: 6
; COMPUTE_PGM_RSRC2:TRAP_HANDLER: 0
; COMPUTE_PGM_RSRC2:TGID_X_EN: 1
; COMPUTE_PGM_RSRC2:TGID_Y_EN: 0
; COMPUTE_PGM_RSRC2:TGID_Z_EN: 0
; COMPUTE_PGM_RSRC2:TIDIG_COMP_CNT: 0
	.section	.text._ZN2at6native32elementwise_kernel_manual_unrollILi128ELi4EZNS0_22gpu_kernel_impl_nocastIZZZNS0_12_GLOBAL__N_121bessel_j1_kernel_cudaERNS_18TensorIteratorBaseEENKUlvE_clEvENKUlvE_clEvEUldE_EEvS5_RKT_EUlibE_EEviT1_,"axG",@progbits,_ZN2at6native32elementwise_kernel_manual_unrollILi128ELi4EZNS0_22gpu_kernel_impl_nocastIZZZNS0_12_GLOBAL__N_121bessel_j1_kernel_cudaERNS_18TensorIteratorBaseEENKUlvE_clEvENKUlvE_clEvEUldE_EEvS5_RKT_EUlibE_EEviT1_,comdat
	.globl	_ZN2at6native32elementwise_kernel_manual_unrollILi128ELi4EZNS0_22gpu_kernel_impl_nocastIZZZNS0_12_GLOBAL__N_121bessel_j1_kernel_cudaERNS_18TensorIteratorBaseEENKUlvE_clEvENKUlvE_clEvEUldE_EEvS5_RKT_EUlibE_EEviT1_ ; -- Begin function _ZN2at6native32elementwise_kernel_manual_unrollILi128ELi4EZNS0_22gpu_kernel_impl_nocastIZZZNS0_12_GLOBAL__N_121bessel_j1_kernel_cudaERNS_18TensorIteratorBaseEENKUlvE_clEvENKUlvE_clEvEUldE_EEvS5_RKT_EUlibE_EEviT1_
	.p2align	8
	.type	_ZN2at6native32elementwise_kernel_manual_unrollILi128ELi4EZNS0_22gpu_kernel_impl_nocastIZZZNS0_12_GLOBAL__N_121bessel_j1_kernel_cudaERNS_18TensorIteratorBaseEENKUlvE_clEvENKUlvE_clEvEUldE_EEvS5_RKT_EUlibE_EEviT1_,@function
_ZN2at6native32elementwise_kernel_manual_unrollILi128ELi4EZNS0_22gpu_kernel_impl_nocastIZZZNS0_12_GLOBAL__N_121bessel_j1_kernel_cudaERNS_18TensorIteratorBaseEENKUlvE_clEvENKUlvE_clEvEUldE_EEvS5_RKT_EUlibE_EEviT1_: ; @_ZN2at6native32elementwise_kernel_manual_unrollILi128ELi4EZNS0_22gpu_kernel_impl_nocastIZZZNS0_12_GLOBAL__N_121bessel_j1_kernel_cudaERNS_18TensorIteratorBaseEENKUlvE_clEvENKUlvE_clEvEUldE_EEvS5_RKT_EUlibE_EEviT1_
; %bb.0:
	s_load_dword s67, s[4:5], 0x0
	s_load_dword s33, s[4:5], 0x8
	s_add_u32 s0, s0, s7
	s_addc_u32 s1, s1, 0
	s_add_u32 s34, s4, 8
	s_addc_u32 s35, s5, 0
	v_lshl_or_b32 v42, s6, 9, v0
	s_waitcnt lgkmcnt(0)
	s_add_i32 s66, s33, -1
	v_or_b32_e32 v2, 0x180, v42
	s_cmp_gt_u32 s66, 1
	v_cmp_le_i32_e32 vcc, s67, v2
	s_cselect_b64 s[52:53], -1, 0
	s_mov_b32 s32, 0
	s_and_saveexec_b64 s[4:5], vcc
	s_xor_b64 s[54:55], exec, s[4:5]
	s_cbranch_execz .LBB6_7
; %bb.1:
	s_load_dwordx4 s[48:51], s[34:35], 0x4
	s_load_dwordx2 s[56:57], s[34:35], 0x14
	s_load_dwordx4 s[44:47], s[34:35], 0xc4
	s_load_dwordx4 s[36:39], s[34:35], 0x148
	s_cmp_lg_u32 s33, 0
	s_cselect_b64 s[62:63], -1, 0
	s_add_u32 s60, s34, 0xc4
	s_addc_u32 s61, s35, 0
	s_min_u32 s68, s66, 15
	s_cmp_gt_u32 s33, 1
	s_cselect_b64 s[58:59], -1, 0
	v_cmp_gt_i32_e32 vcc, s67, v42
	s_and_saveexec_b64 s[64:65], vcc
	s_cbranch_execz .LBB6_14
; %bb.2:
	s_andn2_b64 vcc, exec, s[52:53]
	s_cbranch_vccnz .LBB6_21
; %bb.3:
	s_andn2_b64 vcc, exec, s[62:63]
	s_cbranch_vccnz .LBB6_73
; %bb.4:
	s_add_i32 s29, s68, 1
	s_cmp_eq_u32 s66, 2
	s_cbranch_scc1 .LBB6_75
; %bb.5:
	s_and_b32 s28, s29, 28
	v_mov_b32_e32 v0, 0
	s_mov_b32 s30, 0
	s_mov_b64 s[24:25], s[34:35]
	s_mov_b64 s[26:27], s[60:61]
	v_mov_b32_e32 v38, 0
	v_mov_b32_e32 v1, v42
.LBB6_6:                                ; =>This Inner Loop Header: Depth=1
	s_load_dwordx8 s[12:19], s[24:25], 0x4
	s_load_dwordx4 s[20:23], s[24:25], 0x24
	s_load_dwordx8 s[4:11], s[26:27], 0x0
	s_add_u32 s24, s24, 48
	s_addc_u32 s25, s25, 0
	s_waitcnt lgkmcnt(0)
	v_mul_hi_u32 v2, s13, v1
	s_add_i32 s30, s30, 4
	s_add_u32 s26, s26, 32
	s_addc_u32 s27, s27, 0
	v_add_u32_e32 v2, v1, v2
	v_lshrrev_b32_e32 v2, s14, v2
	v_mul_lo_u32 v3, v2, s12
	v_mul_hi_u32 v4, s16, v2
	s_cmp_lg_u32 s28, s30
	v_sub_u32_e32 v1, v1, v3
	v_add_u32_e32 v3, v2, v4
	v_mul_lo_u32 v4, v1, s4
	v_mul_lo_u32 v5, v1, s5
	v_lshrrev_b32_e32 v1, s17, v3
	v_mul_lo_u32 v3, v1, s15
	v_mul_hi_u32 v6, s19, v1
	v_sub_u32_e32 v2, v2, v3
	v_add_u32_e32 v3, v1, v6
	v_lshrrev_b32_e32 v3, s20, v3
	v_mul_hi_u32 v7, s22, v3
	v_mul_lo_u32 v8, v3, s18
	v_mul_lo_u32 v6, v2, s6
	v_mul_lo_u32 v2, v2, s7
	v_sub_u32_e32 v8, v1, v8
	v_add_u32_e32 v1, v3, v7
	v_lshrrev_b32_e32 v1, s23, v1
	v_mul_lo_u32 v7, v1, s21
	v_mul_lo_u32 v9, v8, s8
	;; [unrolled: 1-line block ×3, first 2 shown]
	v_add3_u32 v4, v4, v38, v6
	v_sub_u32_e32 v3, v3, v7
	v_mul_lo_u32 v7, v3, s10
	v_mul_lo_u32 v3, v3, s11
	v_add3_u32 v0, v5, v0, v2
	v_add3_u32 v38, v9, v4, v7
	;; [unrolled: 1-line block ×3, first 2 shown]
	s_cbranch_scc1 .LBB6_6
	s_branch .LBB6_76
.LBB6_7:
	s_andn2_saveexec_b64 s[4:5], s[54:55]
	s_cbranch_execz .LBB6_101
.LBB6_8:
	v_cndmask_b32_e64 v0, 0, 1, s[52:53]
	v_cmp_ne_u32_e64 s[4:5], 1, v0
	s_andn2_b64 vcc, exec, s[52:53]
	s_cbranch_vccnz .LBB6_20
; %bb.9:
	s_cmp_lg_u32 s33, 0
	s_mov_b32 s30, 0
	s_cbranch_scc0 .LBB6_23
; %bb.10:
	s_min_u32 s31, s66, 15
	s_add_i32 s31, s31, 1
	s_cmp_eq_u32 s66, 2
	s_cbranch_scc1 .LBB6_24
; %bb.11:
	s_and_b32 s30, s31, 28
	s_add_u32 s6, s34, 0xc4
	s_addc_u32 s7, s35, 0
	v_mov_b32_e32 v0, 0
	s_waitcnt lgkmcnt(0)
	s_mov_b32 s36, 0
	s_mov_b64 s[28:29], s[34:35]
	v_mov_b32_e32 v44, 0
	v_mov_b32_e32 v1, v42
.LBB6_12:                               ; =>This Inner Loop Header: Depth=1
	s_load_dwordx8 s[16:23], s[28:29], 0x4
	s_load_dwordx4 s[24:27], s[28:29], 0x24
	s_load_dwordx8 s[8:15], s[6:7], 0x0
	s_add_u32 s28, s28, 48
	s_addc_u32 s29, s29, 0
	s_waitcnt lgkmcnt(0)
	v_mul_hi_u32 v3, s17, v1
	s_add_i32 s36, s36, 4
	s_add_u32 s6, s6, 32
	s_addc_u32 s7, s7, 0
	v_add_u32_e32 v3, v1, v3
	v_lshrrev_b32_e32 v3, s18, v3
	v_mul_lo_u32 v4, v3, s16
	v_mul_hi_u32 v5, s20, v3
	s_cmp_lg_u32 s30, s36
	v_sub_u32_e32 v1, v1, v4
	v_add_u32_e32 v4, v3, v5
	v_mul_lo_u32 v5, v1, s8
	v_mul_lo_u32 v6, v1, s9
	v_lshrrev_b32_e32 v1, s21, v4
	v_mul_lo_u32 v4, v1, s19
	v_mul_hi_u32 v7, s23, v1
	v_sub_u32_e32 v3, v3, v4
	v_add_u32_e32 v4, v1, v7
	v_lshrrev_b32_e32 v4, s24, v4
	v_mul_hi_u32 v8, s26, v4
	v_mul_lo_u32 v9, v4, s22
	v_mul_lo_u32 v7, v3, s10
	;; [unrolled: 1-line block ×3, first 2 shown]
	v_sub_u32_e32 v9, v1, v9
	v_add_u32_e32 v1, v4, v8
	v_lshrrev_b32_e32 v1, s27, v1
	v_mul_lo_u32 v8, v1, s25
	v_mul_lo_u32 v10, v9, s12
	v_mul_lo_u32 v9, v9, s13
	v_add3_u32 v5, v5, v44, v7
	v_sub_u32_e32 v4, v4, v8
	v_mul_lo_u32 v8, v4, s14
	v_mul_lo_u32 v4, v4, s15
	v_add3_u32 v0, v6, v0, v3
	v_add3_u32 v44, v10, v5, v8
	;; [unrolled: 1-line block ×3, first 2 shown]
	s_cbranch_scc1 .LBB6_12
; %bb.13:
	s_and_b32 s10, s31, 3
	s_cmp_eq_u32 s10, 0
	s_cbranch_scc0 .LBB6_25
	s_branch .LBB6_27
.LBB6_14:
	s_or_b64 exec, exec, s[64:65]
	v_cmp_gt_i32_e32 vcc, s67, v42
	s_and_saveexec_b64 s[64:65], vcc
	s_cbranch_execz .LBB6_83
.LBB6_15:
	s_andn2_b64 vcc, exec, s[52:53]
	s_cbranch_vccnz .LBB6_22
; %bb.16:
	s_andn2_b64 vcc, exec, s[62:63]
	s_cbranch_vccnz .LBB6_74
; %bb.17:
	s_add_i32 s29, s68, 1
	s_cmp_eq_u32 s66, 2
	s_cbranch_scc1 .LBB6_91
; %bb.18:
	s_and_b32 s28, s29, 28
	v_mov_b32_e32 v0, 0
	s_mov_b32 s30, 0
	s_mov_b64 s[24:25], s[34:35]
	s_mov_b64 s[26:27], s[60:61]
	v_mov_b32_e32 v38, 0
	v_mov_b32_e32 v1, v42
.LBB6_19:                               ; =>This Inner Loop Header: Depth=1
	s_load_dwordx8 s[12:19], s[24:25], 0x4
	s_load_dwordx4 s[20:23], s[24:25], 0x24
	s_load_dwordx8 s[4:11], s[26:27], 0x0
	s_add_u32 s24, s24, 48
	s_addc_u32 s25, s25, 0
	s_waitcnt lgkmcnt(0)
	v_mul_hi_u32 v2, s13, v1
	s_add_i32 s30, s30, 4
	s_add_u32 s26, s26, 32
	s_addc_u32 s27, s27, 0
	v_add_u32_e32 v2, v1, v2
	v_lshrrev_b32_e32 v2, s14, v2
	v_mul_lo_u32 v3, v2, s12
	v_mul_hi_u32 v4, s16, v2
	s_cmp_eq_u32 s28, s30
	v_sub_u32_e32 v1, v1, v3
	v_add_u32_e32 v3, v2, v4
	v_mul_lo_u32 v4, v1, s4
	v_mul_lo_u32 v5, v1, s5
	v_lshrrev_b32_e32 v1, s17, v3
	v_mul_lo_u32 v3, v1, s15
	v_mul_hi_u32 v6, s19, v1
	v_sub_u32_e32 v2, v2, v3
	v_add_u32_e32 v3, v1, v6
	v_lshrrev_b32_e32 v3, s20, v3
	v_mul_hi_u32 v7, s22, v3
	v_mul_lo_u32 v8, v3, s18
	v_mul_lo_u32 v6, v2, s6
	;; [unrolled: 1-line block ×3, first 2 shown]
	v_sub_u32_e32 v8, v1, v8
	v_add_u32_e32 v1, v3, v7
	v_lshrrev_b32_e32 v1, s23, v1
	v_mul_lo_u32 v7, v1, s21
	v_mul_lo_u32 v9, v8, s8
	;; [unrolled: 1-line block ×3, first 2 shown]
	v_add3_u32 v4, v4, v38, v6
	v_sub_u32_e32 v3, v3, v7
	v_mul_lo_u32 v7, v3, s10
	v_mul_lo_u32 v3, v3, s11
	v_add3_u32 v0, v5, v0, v2
	v_add3_u32 v38, v9, v4, v7
	;; [unrolled: 1-line block ×3, first 2 shown]
	s_cbranch_scc0 .LBB6_19
	s_branch .LBB6_92
.LBB6_20:
                                        ; implicit-def: $vgpr44
                                        ; implicit-def: $vgpr0
	s_branch .LBB6_28
.LBB6_21:
                                        ; implicit-def: $vgpr38
                                        ; implicit-def: $vgpr0
	s_branch .LBB6_80
.LBB6_22:
                                        ; implicit-def: $vgpr38
                                        ; implicit-def: $vgpr0
	s_branch .LBB6_96
.LBB6_23:
	v_mov_b32_e32 v44, 0
	v_mov_b32_e32 v0, 0
	s_branch .LBB6_27
.LBB6_24:
	v_mov_b32_e32 v44, 0
	v_mov_b32_e32 v0, 0
	;; [unrolled: 1-line block ×3, first 2 shown]
	s_and_b32 s10, s31, 3
	s_cmp_eq_u32 s10, 0
	s_cbranch_scc1 .LBB6_27
.LBB6_25:
	s_lshl_b32 s6, s30, 3
	s_add_u32 s6, s34, s6
	s_addc_u32 s7, s35, 0
	s_add_u32 s6, s6, 0xc4
	s_addc_u32 s7, s7, 0
	s_mul_i32 s8, s30, 12
	s_add_u32 s8, s34, s8
	s_addc_u32 s9, s35, 0
.LBB6_26:                               ; =>This Inner Loop Header: Depth=1
	s_load_dwordx2 s[12:13], s[8:9], 0x4
	s_load_dword s11, s[8:9], 0xc
	s_load_dwordx2 s[14:15], s[6:7], 0x0
	s_add_u32 s8, s8, 12
	s_addc_u32 s9, s9, 0
	s_waitcnt lgkmcnt(0)
	v_mul_hi_u32 v3, s13, v1
	s_add_u32 s6, s6, 8
	s_addc_u32 s7, s7, 0
	s_add_i32 s10, s10, -1
	v_add_u32_e32 v3, v1, v3
	v_lshrrev_b32_e32 v3, s11, v3
	v_mul_lo_u32 v4, v3, s12
	s_cmp_lg_u32 s10, 0
	v_sub_u32_e32 v1, v1, v4
	v_mad_u64_u32 v[44:45], s[12:13], v1, s14, v[44:45]
	v_mad_u64_u32 v[0:1], s[12:13], v1, s15, v[0:1]
	v_mov_b32_e32 v1, v3
	s_cbranch_scc1 .LBB6_26
.LBB6_27:
	s_cbranch_execnz .LBB6_30
.LBB6_28:
	s_load_dwordx4 s[8:11], s[34:35], 0x4
	s_load_dwordx2 s[6:7], s[34:35], 0xc4
	s_cmp_lt_u32 s33, 2
	s_waitcnt lgkmcnt(0)
	v_mul_hi_u32 v0, s9, v42
	v_add_u32_e32 v0, v42, v0
	v_lshrrev_b32_e32 v1, s10, v0
	v_mul_lo_u32 v0, v1, s8
	v_sub_u32_e32 v0, v42, v0
	v_mul_lo_u32 v44, v0, s6
	v_mul_lo_u32 v0, v0, s7
	s_cbranch_scc1 .LBB6_30
; %bb.29:
	s_load_dwordx4 s[8:11], s[34:35], 0x10
	s_load_dwordx2 s[6:7], s[34:35], 0xcc
	s_waitcnt lgkmcnt(0)
	v_mul_hi_u32 v3, s9, v1
	v_add_u32_e32 v3, v1, v3
	v_lshrrev_b32_e32 v3, s10, v3
	v_mul_lo_u32 v3, v3, s8
	v_sub_u32_e32 v1, v1, v3
	v_mad_u64_u32 v[44:45], s[8:9], v1, s6, v[44:45]
	v_mad_u64_u32 v[0:1], s[6:7], v1, s7, v[0:1]
.LBB6_30:
	s_and_b64 vcc, exec, s[4:5]
	v_add_u32_e32 v1, 0x80, v42
	s_cbranch_vccnz .LBB6_36
; %bb.31:
	s_cmp_lg_u32 s33, 0
	s_mov_b32 s30, 0
	s_cbranch_scc0 .LBB6_37
; %bb.32:
	s_min_u32 s31, s66, 15
	s_add_i32 s31, s31, 1
	s_cmp_eq_u32 s66, 2
	s_cbranch_scc1 .LBB6_38
; %bb.33:
	s_and_b32 s30, s31, 28
	s_add_u32 s6, s34, 0xc4
	s_addc_u32 s7, s35, 0
	v_mov_b32_e32 v40, 0
	s_waitcnt lgkmcnt(0)
	s_mov_b32 s36, 0
	s_mov_b64 s[28:29], s[34:35]
	v_mov_b32_e32 v45, 0
	v_mov_b32_e32 v3, v1
.LBB6_34:                               ; =>This Inner Loop Header: Depth=1
	s_load_dwordx8 s[16:23], s[28:29], 0x4
	s_load_dwordx4 s[24:27], s[28:29], 0x24
	s_load_dwordx8 s[8:15], s[6:7], 0x0
	s_add_u32 s28, s28, 48
	s_addc_u32 s29, s29, 0
	s_waitcnt lgkmcnt(0)
	v_mul_hi_u32 v4, s17, v3
	s_add_i32 s36, s36, 4
	s_add_u32 s6, s6, 32
	s_addc_u32 s7, s7, 0
	v_add_u32_e32 v4, v3, v4
	v_lshrrev_b32_e32 v4, s18, v4
	v_mul_lo_u32 v5, v4, s16
	v_mul_hi_u32 v6, s20, v4
	s_cmp_lg_u32 s30, s36
	v_sub_u32_e32 v3, v3, v5
	v_add_u32_e32 v5, v4, v6
	v_mul_lo_u32 v6, v3, s8
	v_mul_lo_u32 v7, v3, s9
	v_lshrrev_b32_e32 v3, s21, v5
	v_mul_lo_u32 v5, v3, s19
	v_mul_hi_u32 v8, s23, v3
	v_sub_u32_e32 v4, v4, v5
	v_add_u32_e32 v5, v3, v8
	v_lshrrev_b32_e32 v5, s24, v5
	v_mul_hi_u32 v9, s26, v5
	v_mul_lo_u32 v10, v5, s22
	v_mul_lo_u32 v8, v4, s10
	;; [unrolled: 1-line block ×3, first 2 shown]
	v_sub_u32_e32 v10, v3, v10
	v_add_u32_e32 v3, v5, v9
	v_lshrrev_b32_e32 v3, s27, v3
	v_mul_lo_u32 v9, v3, s25
	v_mul_lo_u32 v11, v10, s12
	;; [unrolled: 1-line block ×3, first 2 shown]
	v_add3_u32 v6, v6, v45, v8
	v_sub_u32_e32 v5, v5, v9
	v_mul_lo_u32 v9, v5, s14
	v_mul_lo_u32 v5, v5, s15
	v_add3_u32 v4, v7, v40, v4
	v_add3_u32 v45, v11, v6, v9
	;; [unrolled: 1-line block ×3, first 2 shown]
	s_cbranch_scc1 .LBB6_34
; %bb.35:
	s_and_b32 s10, s31, 3
	s_cmp_eq_u32 s10, 0
	s_cbranch_scc0 .LBB6_39
	s_branch .LBB6_41
.LBB6_36:
                                        ; implicit-def: $vgpr45
                                        ; implicit-def: $vgpr40
	s_branch .LBB6_42
.LBB6_37:
	v_mov_b32_e32 v45, 0
	v_mov_b32_e32 v40, 0
	s_branch .LBB6_41
.LBB6_38:
	v_mov_b32_e32 v45, 0
	v_mov_b32_e32 v40, 0
	;; [unrolled: 1-line block ×3, first 2 shown]
	s_and_b32 s10, s31, 3
	s_cmp_eq_u32 s10, 0
	s_cbranch_scc1 .LBB6_41
.LBB6_39:
	s_lshl_b32 s6, s30, 3
	s_add_u32 s6, s34, s6
	s_addc_u32 s7, s35, 0
	s_add_u32 s6, s6, 0xc4
	s_addc_u32 s7, s7, 0
	s_mul_i32 s8, s30, 12
	s_add_u32 s8, s34, s8
	s_addc_u32 s9, s35, 0
.LBB6_40:                               ; =>This Inner Loop Header: Depth=1
	s_load_dwordx2 s[12:13], s[8:9], 0x4
	s_load_dword s11, s[8:9], 0xc
	s_load_dwordx2 s[14:15], s[6:7], 0x0
	s_add_u32 s8, s8, 12
	s_addc_u32 s9, s9, 0
	s_waitcnt lgkmcnt(0)
	v_mul_hi_u32 v4, s13, v3
	s_add_u32 s6, s6, 8
	s_addc_u32 s7, s7, 0
	s_add_i32 s10, s10, -1
	v_add_u32_e32 v4, v3, v4
	v_lshrrev_b32_e32 v4, s11, v4
	v_mul_lo_u32 v5, v4, s12
	s_cmp_lg_u32 s10, 0
	v_sub_u32_e32 v3, v3, v5
	v_mad_u64_u32 v[45:46], s[12:13], v3, s14, v[45:46]
	v_mad_u64_u32 v[40:41], s[12:13], v3, s15, v[40:41]
	v_mov_b32_e32 v3, v4
	s_cbranch_scc1 .LBB6_40
.LBB6_41:
	s_cbranch_execnz .LBB6_44
.LBB6_42:
	s_load_dwordx4 s[8:11], s[34:35], 0x4
	s_load_dwordx2 s[6:7], s[34:35], 0xc4
	s_cmp_lt_u32 s33, 2
	s_waitcnt lgkmcnt(0)
	v_mul_hi_u32 v3, s9, v1
	v_add_u32_e32 v3, v1, v3
	v_lshrrev_b32_e32 v3, s10, v3
	v_mul_lo_u32 v4, v3, s8
	v_sub_u32_e32 v1, v1, v4
	v_mul_lo_u32 v45, v1, s6
	v_mul_lo_u32 v40, v1, s7
	s_cbranch_scc1 .LBB6_44
; %bb.43:
	s_load_dwordx4 s[8:11], s[34:35], 0x10
	s_load_dwordx2 s[6:7], s[34:35], 0xcc
	s_waitcnt lgkmcnt(0)
	v_mul_hi_u32 v1, s9, v3
	v_add_u32_e32 v1, v3, v1
	v_lshrrev_b32_e32 v1, s10, v1
	v_mul_lo_u32 v1, v1, s8
	v_sub_u32_e32 v1, v3, v1
	v_mad_u64_u32 v[45:46], s[8:9], v1, s6, v[45:46]
	v_mad_u64_u32 v[40:41], s[6:7], v1, s7, v[40:41]
.LBB6_44:
	s_and_b64 vcc, exec, s[4:5]
	v_add_u32_e32 v1, 0x100, v42
	s_cbranch_vccnz .LBB6_50
; %bb.45:
	s_cmp_lg_u32 s33, 0
	s_mov_b32 s30, 0
	s_cbranch_scc0 .LBB6_51
; %bb.46:
	s_min_u32 s31, s66, 15
	s_add_i32 s31, s31, 1
	s_cmp_eq_u32 s66, 2
	s_cbranch_scc1 .LBB6_52
; %bb.47:
	s_and_b32 s30, s31, 28
	s_add_u32 s6, s34, 0xc4
	s_addc_u32 s7, s35, 0
	v_mov_b32_e32 v42, 0
	s_waitcnt lgkmcnt(0)
	s_mov_b32 s36, 0
	s_mov_b64 s[28:29], s[34:35]
	v_mov_b32_e32 v46, 0
	v_mov_b32_e32 v3, v1
.LBB6_48:                               ; =>This Inner Loop Header: Depth=1
	s_load_dwordx8 s[16:23], s[28:29], 0x4
	s_load_dwordx4 s[24:27], s[28:29], 0x24
	s_load_dwordx8 s[8:15], s[6:7], 0x0
	s_add_u32 s28, s28, 48
	s_addc_u32 s29, s29, 0
	s_waitcnt lgkmcnt(0)
	v_mul_hi_u32 v4, s17, v3
	s_add_i32 s36, s36, 4
	s_add_u32 s6, s6, 32
	s_addc_u32 s7, s7, 0
	v_add_u32_e32 v4, v3, v4
	v_lshrrev_b32_e32 v4, s18, v4
	v_mul_lo_u32 v5, v4, s16
	v_mul_hi_u32 v6, s20, v4
	s_cmp_lg_u32 s30, s36
	v_sub_u32_e32 v3, v3, v5
	v_add_u32_e32 v5, v4, v6
	v_mul_lo_u32 v6, v3, s8
	v_mul_lo_u32 v7, v3, s9
	v_lshrrev_b32_e32 v3, s21, v5
	v_mul_lo_u32 v5, v3, s19
	v_mul_hi_u32 v8, s23, v3
	v_sub_u32_e32 v4, v4, v5
	v_add_u32_e32 v5, v3, v8
	v_lshrrev_b32_e32 v5, s24, v5
	v_mul_hi_u32 v9, s26, v5
	v_mul_lo_u32 v10, v5, s22
	v_mul_lo_u32 v8, v4, s10
	;; [unrolled: 1-line block ×3, first 2 shown]
	v_sub_u32_e32 v10, v3, v10
	v_add_u32_e32 v3, v5, v9
	v_lshrrev_b32_e32 v3, s27, v3
	v_mul_lo_u32 v9, v3, s25
	v_mul_lo_u32 v11, v10, s12
	v_mul_lo_u32 v10, v10, s13
	v_add3_u32 v6, v6, v46, v8
	v_sub_u32_e32 v5, v5, v9
	v_mul_lo_u32 v9, v5, s14
	v_mul_lo_u32 v5, v5, s15
	v_add3_u32 v4, v7, v42, v4
	v_add3_u32 v46, v11, v6, v9
	;; [unrolled: 1-line block ×3, first 2 shown]
	s_cbranch_scc1 .LBB6_48
; %bb.49:
	s_and_b32 s10, s31, 3
	s_cmp_eq_u32 s10, 0
	s_cbranch_scc0 .LBB6_53
	s_branch .LBB6_55
.LBB6_50:
                                        ; implicit-def: $vgpr46
                                        ; implicit-def: $vgpr42
	s_branch .LBB6_56
.LBB6_51:
	v_mov_b32_e32 v46, 0
	v_mov_b32_e32 v42, 0
	s_branch .LBB6_55
.LBB6_52:
	v_mov_b32_e32 v46, 0
	v_mov_b32_e32 v42, 0
	;; [unrolled: 1-line block ×3, first 2 shown]
	s_and_b32 s10, s31, 3
	s_cmp_eq_u32 s10, 0
	s_cbranch_scc1 .LBB6_55
.LBB6_53:
	s_lshl_b32 s6, s30, 3
	s_add_u32 s6, s34, s6
	s_addc_u32 s7, s35, 0
	s_add_u32 s6, s6, 0xc4
	s_addc_u32 s7, s7, 0
	s_mul_i32 s8, s30, 12
	s_add_u32 s8, s34, s8
	s_addc_u32 s9, s35, 0
.LBB6_54:                               ; =>This Inner Loop Header: Depth=1
	s_load_dwordx2 s[12:13], s[8:9], 0x4
	s_load_dword s11, s[8:9], 0xc
	s_load_dwordx2 s[14:15], s[6:7], 0x0
	s_add_u32 s8, s8, 12
	s_addc_u32 s9, s9, 0
	s_waitcnt lgkmcnt(0)
	v_mul_hi_u32 v4, s13, v3
	s_add_u32 s6, s6, 8
	s_addc_u32 s7, s7, 0
	s_add_i32 s10, s10, -1
	v_add_u32_e32 v4, v3, v4
	v_lshrrev_b32_e32 v4, s11, v4
	v_mul_lo_u32 v5, v4, s12
	s_cmp_lg_u32 s10, 0
	v_sub_u32_e32 v3, v3, v5
	v_mad_u64_u32 v[46:47], s[12:13], v3, s14, v[46:47]
	v_mad_u64_u32 v[42:43], s[12:13], v3, s15, v[42:43]
	v_mov_b32_e32 v3, v4
	s_cbranch_scc1 .LBB6_54
.LBB6_55:
	s_cbranch_execnz .LBB6_58
.LBB6_56:
	s_load_dwordx4 s[8:11], s[34:35], 0x4
	s_load_dwordx2 s[6:7], s[34:35], 0xc4
	s_cmp_lt_u32 s33, 2
	s_waitcnt lgkmcnt(0)
	v_mul_hi_u32 v3, s9, v1
	v_add_u32_e32 v3, v1, v3
	v_lshrrev_b32_e32 v3, s10, v3
	v_mul_lo_u32 v4, v3, s8
	v_sub_u32_e32 v1, v1, v4
	v_mul_lo_u32 v46, v1, s6
	v_mul_lo_u32 v42, v1, s7
	s_cbranch_scc1 .LBB6_58
; %bb.57:
	s_load_dwordx4 s[8:11], s[34:35], 0x10
	s_load_dwordx2 s[6:7], s[34:35], 0xcc
	s_waitcnt lgkmcnt(0)
	v_mul_hi_u32 v1, s9, v3
	v_add_u32_e32 v1, v3, v1
	v_lshrrev_b32_e32 v1, s10, v1
	v_mul_lo_u32 v1, v1, s8
	v_sub_u32_e32 v1, v3, v1
	v_mad_u64_u32 v[46:47], s[8:9], v1, s6, v[46:47]
	v_mad_u64_u32 v[42:43], s[6:7], v1, s7, v[42:43]
.LBB6_58:
	s_and_b64 vcc, exec, s[4:5]
	s_cbranch_vccnz .LBB6_64
; %bb.59:
	s_cmp_lg_u32 s33, 0
	s_mov_b32 s28, 0
	s_cbranch_scc0 .LBB6_65
; %bb.60:
	s_min_u32 s29, s66, 15
	s_add_i32 s29, s29, 1
	s_cmp_eq_u32 s66, 2
	s_cbranch_scc1 .LBB6_66
; %bb.61:
	s_and_b32 s28, s29, 28
	s_add_u32 s24, s34, 0xc4
	s_addc_u32 s25, s35, 0
	v_mov_b32_e32 v49, 0
	s_mov_b32 s30, 0
	s_mov_b64 s[26:27], s[34:35]
	v_mov_b32_e32 v47, 0
	v_mov_b32_e32 v1, v2
.LBB6_62:                               ; =>This Inner Loop Header: Depth=1
	s_load_dwordx8 s[12:19], s[26:27], 0x4
	s_load_dwordx4 s[20:23], s[26:27], 0x24
	s_load_dwordx8 s[4:11], s[24:25], 0x0
	s_add_u32 s26, s26, 48
	s_addc_u32 s27, s27, 0
	s_waitcnt lgkmcnt(0)
	v_mul_hi_u32 v3, s13, v1
	s_add_i32 s30, s30, 4
	s_add_u32 s24, s24, 32
	s_addc_u32 s25, s25, 0
	v_add_u32_e32 v3, v1, v3
	v_lshrrev_b32_e32 v3, s14, v3
	v_mul_lo_u32 v4, v3, s12
	v_mul_hi_u32 v5, s16, v3
	s_cmp_lg_u32 s28, s30
	v_sub_u32_e32 v1, v1, v4
	v_add_u32_e32 v4, v3, v5
	v_mul_lo_u32 v5, v1, s4
	v_mul_lo_u32 v6, v1, s5
	v_lshrrev_b32_e32 v1, s17, v4
	v_mul_lo_u32 v4, v1, s15
	v_mul_hi_u32 v7, s19, v1
	v_sub_u32_e32 v3, v3, v4
	v_add_u32_e32 v4, v1, v7
	v_lshrrev_b32_e32 v4, s20, v4
	v_mul_hi_u32 v8, s22, v4
	v_mul_lo_u32 v9, v4, s18
	v_mul_lo_u32 v7, v3, s6
	;; [unrolled: 1-line block ×3, first 2 shown]
	v_sub_u32_e32 v9, v1, v9
	v_add_u32_e32 v1, v4, v8
	v_lshrrev_b32_e32 v1, s23, v1
	v_mul_lo_u32 v8, v1, s21
	v_mul_lo_u32 v10, v9, s8
	;; [unrolled: 1-line block ×3, first 2 shown]
	v_add3_u32 v5, v5, v47, v7
	v_sub_u32_e32 v4, v4, v8
	v_mul_lo_u32 v8, v4, s10
	v_mul_lo_u32 v4, v4, s11
	v_add3_u32 v3, v6, v49, v3
	v_add3_u32 v47, v10, v5, v8
	;; [unrolled: 1-line block ×3, first 2 shown]
	s_cbranch_scc1 .LBB6_62
; %bb.63:
	s_and_b32 s8, s29, 3
	s_cmp_eq_u32 s8, 0
	s_cbranch_scc0 .LBB6_67
	s_branch .LBB6_69
.LBB6_64:
                                        ; implicit-def: $vgpr47
                                        ; implicit-def: $vgpr49
	s_branch .LBB6_70
.LBB6_65:
	v_mov_b32_e32 v47, 0
	v_mov_b32_e32 v49, 0
	s_branch .LBB6_69
.LBB6_66:
	v_mov_b32_e32 v47, 0
	v_mov_b32_e32 v49, 0
	v_mov_b32_e32 v1, v2
	s_and_b32 s8, s29, 3
	s_cmp_eq_u32 s8, 0
	s_cbranch_scc1 .LBB6_69
.LBB6_67:
	s_lshl_b32 s4, s28, 3
	s_add_u32 s4, s34, s4
	s_addc_u32 s5, s35, 0
	s_add_u32 s4, s4, 0xc4
	s_addc_u32 s5, s5, 0
	s_mul_i32 s6, s28, 12
	s_add_u32 s6, s34, s6
	s_addc_u32 s7, s35, 0
.LBB6_68:                               ; =>This Inner Loop Header: Depth=1
	s_load_dwordx2 s[10:11], s[6:7], 0x4
	s_load_dword s9, s[6:7], 0xc
	s_load_dwordx2 s[12:13], s[4:5], 0x0
	s_add_u32 s6, s6, 12
	s_addc_u32 s7, s7, 0
	s_waitcnt lgkmcnt(0)
	v_mul_hi_u32 v3, s11, v1
	s_add_u32 s4, s4, 8
	s_addc_u32 s5, s5, 0
	s_add_i32 s8, s8, -1
	v_add_u32_e32 v3, v1, v3
	v_lshrrev_b32_e32 v3, s9, v3
	v_mul_lo_u32 v4, v3, s10
	s_cmp_lg_u32 s8, 0
	v_sub_u32_e32 v1, v1, v4
	v_mad_u64_u32 v[47:48], s[10:11], v1, s12, v[47:48]
	v_mad_u64_u32 v[49:50], s[10:11], v1, s13, v[49:50]
	v_mov_b32_e32 v1, v3
	s_cbranch_scc1 .LBB6_68
.LBB6_69:
	s_cbranch_execnz .LBB6_72
.LBB6_70:
	s_load_dwordx4 s[4:7], s[34:35], 0x4
	s_load_dwordx2 s[8:9], s[34:35], 0xc4
	s_cmp_lt_u32 s33, 2
	s_waitcnt lgkmcnt(0)
	v_mul_hi_u32 v1, s5, v2
	v_add_u32_e32 v1, v2, v1
	v_lshrrev_b32_e32 v1, s6, v1
	v_mul_lo_u32 v3, v1, s4
	v_sub_u32_e32 v2, v2, v3
	v_mul_lo_u32 v47, v2, s8
	v_mul_lo_u32 v49, v2, s9
	s_cbranch_scc1 .LBB6_72
; %bb.71:
	s_load_dwordx4 s[4:7], s[34:35], 0x10
	s_load_dwordx2 s[8:9], s[34:35], 0xcc
	s_waitcnt lgkmcnt(0)
	v_mul_hi_u32 v2, s5, v1
	v_add_u32_e32 v2, v1, v2
	v_lshrrev_b32_e32 v2, s6, v2
	v_mul_lo_u32 v2, v2, s4
	v_sub_u32_e32 v1, v1, v2
	v_mad_u64_u32 v[47:48], s[4:5], v1, s8, v[47:48]
	v_mad_u64_u32 v[49:50], s[4:5], v1, s9, v[49:50]
.LBB6_72:
	s_waitcnt lgkmcnt(0)
	s_load_dwordx4 s[36:39], s[34:35], 0x148
	s_getpc_b64 s[34:35]
	s_add_u32 s34, s34, _ZZZZN2at6native12_GLOBAL__N_121bessel_j1_kernel_cudaERNS_18TensorIteratorBaseEENKUlvE_clEvENKUlvE_clEvENKUldE_clEd@rel32@lo+4
	s_addc_u32 s35, s35, _ZZZZN2at6native12_GLOBAL__N_121bessel_j1_kernel_cudaERNS_18TensorIteratorBaseEENKUlvE_clEvENKUlvE_clEvENKUldE_clEd@rel32@hi+12
	s_waitcnt lgkmcnt(0)
	global_load_dwordx2 v[0:1], v0, s[38:39]
	s_swappc_b64 s[30:31], s[34:35]
	v_mov_b32_e32 v38, v0
	v_mov_b32_e32 v39, v1
	global_load_dwordx2 v[0:1], v40, s[38:39]
	s_swappc_b64 s[30:31], s[34:35]
	v_mov_b32_e32 v40, v0
	v_mov_b32_e32 v41, v1
	;; [unrolled: 4-line block ×3, first 2 shown]
	global_load_dwordx2 v[0:1], v49, s[38:39]
	s_swappc_b64 s[30:31], s[34:35]
	global_store_dwordx2 v44, v[38:39], s[36:37]
	global_store_dwordx2 v45, v[40:41], s[36:37]
	;; [unrolled: 1-line block ×4, first 2 shown]
	s_endpgm
.LBB6_73:
	v_mov_b32_e32 v38, 0
	v_mov_b32_e32 v0, 0
	s_branch .LBB6_79
.LBB6_74:
	v_mov_b32_e32 v38, 0
	v_mov_b32_e32 v0, 0
	s_branch .LBB6_95
.LBB6_75:
	s_mov_b32 s28, 0
	v_mov_b32_e32 v38, 0
	v_mov_b32_e32 v0, 0
	;; [unrolled: 1-line block ×3, first 2 shown]
.LBB6_76:
	s_and_b32 s8, s29, 3
	s_cmp_eq_u32 s8, 0
	s_cbranch_scc1 .LBB6_79
; %bb.77:
	s_lshl_b32 s4, s28, 3
	s_add_u32 s4, s34, s4
	s_addc_u32 s5, s35, 0
	s_add_u32 s4, s4, 0xc4
	s_addc_u32 s5, s5, 0
	s_mul_i32 s6, s28, 12
	s_add_u32 s6, s34, s6
	s_addc_u32 s7, s35, 0
.LBB6_78:                               ; =>This Inner Loop Header: Depth=1
	s_load_dwordx2 s[10:11], s[6:7], 0x4
	s_load_dword s9, s[6:7], 0xc
	s_load_dwordx2 s[12:13], s[4:5], 0x0
	s_add_u32 s6, s6, 12
	s_addc_u32 s7, s7, 0
	s_waitcnt lgkmcnt(0)
	v_mul_hi_u32 v2, s11, v1
	s_add_u32 s4, s4, 8
	s_addc_u32 s5, s5, 0
	s_add_i32 s8, s8, -1
	v_add_u32_e32 v2, v1, v2
	v_lshrrev_b32_e32 v2, s9, v2
	v_mul_lo_u32 v3, v2, s10
	s_cmp_lg_u32 s8, 0
	v_sub_u32_e32 v1, v1, v3
	v_mad_u64_u32 v[38:39], s[10:11], v1, s12, v[38:39]
	v_mad_u64_u32 v[0:1], s[10:11], v1, s13, v[0:1]
	v_mov_b32_e32 v1, v2
	s_cbranch_scc1 .LBB6_78
.LBB6_79:
	s_cbranch_execnz .LBB6_82
.LBB6_80:
	s_waitcnt lgkmcnt(0)
	v_mul_hi_u32 v0, s49, v42
	s_andn2_b64 vcc, exec, s[58:59]
	v_add_u32_e32 v0, v42, v0
	v_lshrrev_b32_e32 v1, s50, v0
	v_mul_lo_u32 v0, v1, s48
	v_sub_u32_e32 v0, v42, v0
	v_mul_lo_u32 v38, v0, s44
	v_mul_lo_u32 v0, v0, s45
	s_cbranch_vccnz .LBB6_82
; %bb.81:
	v_mul_hi_u32 v2, s56, v1
	v_add_u32_e32 v2, v1, v2
	v_lshrrev_b32_e32 v2, s57, v2
	v_mul_lo_u32 v2, v2, s51
	v_sub_u32_e32 v1, v1, v2
	v_mad_u64_u32 v[38:39], s[4:5], v1, s46, v[38:39]
	v_mad_u64_u32 v[0:1], s[4:5], v1, s47, v[0:1]
.LBB6_82:
	s_waitcnt lgkmcnt(0)
	global_load_dwordx2 v[0:1], v0, s[38:39]
	s_getpc_b64 s[4:5]
	s_add_u32 s4, s4, _ZZZZN2at6native12_GLOBAL__N_121bessel_j1_kernel_cudaERNS_18TensorIteratorBaseEENKUlvE_clEvENKUlvE_clEvENKUldE_clEd@rel32@lo+4
	s_addc_u32 s5, s5, _ZZZZN2at6native12_GLOBAL__N_121bessel_j1_kernel_cudaERNS_18TensorIteratorBaseEENKUlvE_clEvENKUlvE_clEvENKUldE_clEd@rel32@hi+12
	s_swappc_b64 s[30:31], s[4:5]
	v_add_u32_e32 v42, 0x80, v42
	global_store_dwordx2 v38, v[0:1], s[36:37]
	s_or_b64 exec, exec, s[64:65]
	v_cmp_gt_i32_e32 vcc, s67, v42
	s_and_saveexec_b64 s[64:65], vcc
	s_cbranch_execnz .LBB6_15
.LBB6_83:
	s_or_b64 exec, exec, s[64:65]
	v_cmp_gt_i32_e32 vcc, s67, v42
	s_and_saveexec_b64 s[64:65], vcc
	s_cbranch_execz .LBB6_99
.LBB6_84:
	s_andn2_b64 vcc, exec, s[52:53]
	s_cbranch_vccnz .LBB6_89
; %bb.85:
	s_andn2_b64 vcc, exec, s[62:63]
	s_cbranch_vccnz .LBB6_90
; %bb.86:
	s_add_i32 s29, s68, 1
	s_cmp_eq_u32 s66, 2
	s_cbranch_scc1 .LBB6_102
; %bb.87:
	s_and_b32 s28, s29, 28
	v_mov_b32_e32 v0, 0
	s_mov_b32 s30, 0
	s_mov_b64 s[24:25], s[34:35]
	s_mov_b64 s[26:27], s[60:61]
	v_mov_b32_e32 v38, 0
	v_mov_b32_e32 v1, v42
.LBB6_88:                               ; =>This Inner Loop Header: Depth=1
	s_load_dwordx8 s[12:19], s[24:25], 0x4
	s_load_dwordx4 s[20:23], s[24:25], 0x24
	s_load_dwordx8 s[4:11], s[26:27], 0x0
	s_add_u32 s24, s24, 48
	s_addc_u32 s25, s25, 0
	s_waitcnt lgkmcnt(0)
	v_mul_hi_u32 v2, s13, v1
	s_add_i32 s30, s30, 4
	s_add_u32 s26, s26, 32
	s_addc_u32 s27, s27, 0
	v_add_u32_e32 v2, v1, v2
	v_lshrrev_b32_e32 v2, s14, v2
	v_mul_lo_u32 v3, v2, s12
	v_mul_hi_u32 v4, s16, v2
	s_cmp_eq_u32 s28, s30
	v_sub_u32_e32 v1, v1, v3
	v_add_u32_e32 v3, v2, v4
	v_mul_lo_u32 v4, v1, s4
	v_mul_lo_u32 v5, v1, s5
	v_lshrrev_b32_e32 v1, s17, v3
	v_mul_lo_u32 v3, v1, s15
	v_mul_hi_u32 v6, s19, v1
	v_sub_u32_e32 v2, v2, v3
	v_add_u32_e32 v3, v1, v6
	v_lshrrev_b32_e32 v3, s20, v3
	v_mul_hi_u32 v7, s22, v3
	v_mul_lo_u32 v8, v3, s18
	v_mul_lo_u32 v6, v2, s6
	;; [unrolled: 1-line block ×3, first 2 shown]
	v_sub_u32_e32 v8, v1, v8
	v_add_u32_e32 v1, v3, v7
	v_lshrrev_b32_e32 v1, s23, v1
	v_mul_lo_u32 v7, v1, s21
	v_mul_lo_u32 v9, v8, s8
	;; [unrolled: 1-line block ×3, first 2 shown]
	v_add3_u32 v4, v4, v38, v6
	v_sub_u32_e32 v3, v3, v7
	v_mul_lo_u32 v7, v3, s10
	v_mul_lo_u32 v3, v3, s11
	v_add3_u32 v0, v5, v0, v2
	v_add3_u32 v38, v9, v4, v7
	;; [unrolled: 1-line block ×3, first 2 shown]
	s_cbranch_scc0 .LBB6_88
	s_branch .LBB6_103
.LBB6_89:
                                        ; implicit-def: $vgpr38
                                        ; implicit-def: $vgpr0
	s_branch .LBB6_107
.LBB6_90:
	v_mov_b32_e32 v38, 0
	v_mov_b32_e32 v0, 0
	s_branch .LBB6_106
.LBB6_91:
	s_mov_b32 s28, 0
	v_mov_b32_e32 v38, 0
	v_mov_b32_e32 v0, 0
	;; [unrolled: 1-line block ×3, first 2 shown]
.LBB6_92:
	s_and_b32 s8, s29, 3
	s_cmp_eq_u32 s8, 0
	s_cbranch_scc1 .LBB6_95
; %bb.93:
	s_lshl_b32 s4, s28, 3
	s_add_u32 s4, s34, s4
	s_addc_u32 s5, s35, 0
	s_add_u32 s4, s4, 0xc4
	s_addc_u32 s5, s5, 0
	s_mul_i32 s6, s28, 12
	s_add_u32 s6, s34, s6
	s_addc_u32 s7, s35, 0
.LBB6_94:                               ; =>This Inner Loop Header: Depth=1
	s_load_dwordx2 s[10:11], s[6:7], 0x4
	s_load_dword s9, s[6:7], 0xc
	s_load_dwordx2 s[12:13], s[4:5], 0x0
	s_add_u32 s6, s6, 12
	s_addc_u32 s7, s7, 0
	s_waitcnt lgkmcnt(0)
	v_mul_hi_u32 v2, s11, v1
	s_add_u32 s4, s4, 8
	s_addc_u32 s5, s5, 0
	s_add_i32 s8, s8, -1
	v_add_u32_e32 v2, v1, v2
	v_lshrrev_b32_e32 v2, s9, v2
	v_mul_lo_u32 v3, v2, s10
	s_cmp_lg_u32 s8, 0
	v_sub_u32_e32 v1, v1, v3
	v_mad_u64_u32 v[38:39], s[10:11], v1, s12, v[38:39]
	v_mad_u64_u32 v[0:1], s[10:11], v1, s13, v[0:1]
	v_mov_b32_e32 v1, v2
	s_cbranch_scc1 .LBB6_94
.LBB6_95:
	s_cbranch_execnz .LBB6_98
.LBB6_96:
	s_waitcnt lgkmcnt(0)
	v_mul_hi_u32 v0, s49, v42
	s_andn2_b64 vcc, exec, s[58:59]
	v_add_u32_e32 v0, v42, v0
	v_lshrrev_b32_e32 v1, s50, v0
	v_mul_lo_u32 v0, v1, s48
	v_sub_u32_e32 v0, v42, v0
	v_mul_lo_u32 v38, v0, s44
	v_mul_lo_u32 v0, v0, s45
	s_cbranch_vccnz .LBB6_98
; %bb.97:
	v_mul_hi_u32 v2, s56, v1
	v_add_u32_e32 v2, v1, v2
	v_lshrrev_b32_e32 v2, s57, v2
	v_mul_lo_u32 v2, v2, s51
	v_sub_u32_e32 v1, v1, v2
	v_mad_u64_u32 v[38:39], s[4:5], v1, s46, v[38:39]
	v_mad_u64_u32 v[0:1], s[4:5], v1, s47, v[0:1]
.LBB6_98:
	s_waitcnt lgkmcnt(0)
	global_load_dwordx2 v[0:1], v0, s[38:39]
	s_getpc_b64 s[4:5]
	s_add_u32 s4, s4, _ZZZZN2at6native12_GLOBAL__N_121bessel_j1_kernel_cudaERNS_18TensorIteratorBaseEENKUlvE_clEvENKUlvE_clEvENKUldE_clEd@rel32@lo+4
	s_addc_u32 s5, s5, _ZZZZN2at6native12_GLOBAL__N_121bessel_j1_kernel_cudaERNS_18TensorIteratorBaseEENKUlvE_clEvENKUlvE_clEvENKUldE_clEd@rel32@hi+12
	s_swappc_b64 s[30:31], s[4:5]
	v_add_u32_e32 v42, 0x80, v42
	global_store_dwordx2 v38, v[0:1], s[36:37]
	s_or_b64 exec, exec, s[64:65]
	v_cmp_gt_i32_e32 vcc, s67, v42
	s_and_saveexec_b64 s[64:65], vcc
	s_cbranch_execnz .LBB6_84
.LBB6_99:
	s_or_b64 exec, exec, s[64:65]
	v_cmp_gt_i32_e32 vcc, s67, v42
	s_and_saveexec_b64 s[64:65], vcc
	s_cbranch_execnz .LBB6_110
.LBB6_100:
	s_or_b64 exec, exec, s[64:65]
                                        ; implicit-def: $vgpr2
                                        ; implicit-def: $vgpr42
	s_andn2_saveexec_b64 s[4:5], s[54:55]
	s_cbranch_execnz .LBB6_8
.LBB6_101:
	s_endpgm
.LBB6_102:
	s_mov_b32 s28, 0
	v_mov_b32_e32 v38, 0
	v_mov_b32_e32 v0, 0
	;; [unrolled: 1-line block ×3, first 2 shown]
.LBB6_103:
	s_and_b32 s8, s29, 3
	s_cmp_eq_u32 s8, 0
	s_cbranch_scc1 .LBB6_106
; %bb.104:
	s_lshl_b32 s4, s28, 3
	s_add_u32 s4, s34, s4
	s_addc_u32 s5, s35, 0
	s_add_u32 s4, s4, 0xc4
	s_addc_u32 s5, s5, 0
	s_mul_i32 s6, s28, 12
	s_add_u32 s6, s34, s6
	s_addc_u32 s7, s35, 0
.LBB6_105:                              ; =>This Inner Loop Header: Depth=1
	s_load_dwordx2 s[10:11], s[6:7], 0x4
	s_load_dword s9, s[6:7], 0xc
	s_load_dwordx2 s[12:13], s[4:5], 0x0
	s_add_u32 s6, s6, 12
	s_addc_u32 s7, s7, 0
	s_waitcnt lgkmcnt(0)
	v_mul_hi_u32 v2, s11, v1
	s_add_u32 s4, s4, 8
	s_addc_u32 s5, s5, 0
	s_add_i32 s8, s8, -1
	v_add_u32_e32 v2, v1, v2
	v_lshrrev_b32_e32 v2, s9, v2
	v_mul_lo_u32 v3, v2, s10
	s_cmp_lg_u32 s8, 0
	v_sub_u32_e32 v1, v1, v3
	v_mad_u64_u32 v[38:39], s[10:11], v1, s12, v[38:39]
	v_mad_u64_u32 v[0:1], s[10:11], v1, s13, v[0:1]
	v_mov_b32_e32 v1, v2
	s_cbranch_scc1 .LBB6_105
.LBB6_106:
	s_cbranch_execnz .LBB6_109
.LBB6_107:
	s_waitcnt lgkmcnt(0)
	v_mul_hi_u32 v0, s49, v42
	s_andn2_b64 vcc, exec, s[58:59]
	v_add_u32_e32 v0, v42, v0
	v_lshrrev_b32_e32 v1, s50, v0
	v_mul_lo_u32 v0, v1, s48
	v_sub_u32_e32 v0, v42, v0
	v_mul_lo_u32 v38, v0, s44
	v_mul_lo_u32 v0, v0, s45
	s_cbranch_vccnz .LBB6_109
; %bb.108:
	v_mul_hi_u32 v2, s56, v1
	v_add_u32_e32 v2, v1, v2
	v_lshrrev_b32_e32 v2, s57, v2
	v_mul_lo_u32 v2, v2, s51
	v_sub_u32_e32 v1, v1, v2
	v_mad_u64_u32 v[38:39], s[4:5], v1, s46, v[38:39]
	v_mad_u64_u32 v[0:1], s[4:5], v1, s47, v[0:1]
.LBB6_109:
	s_waitcnt lgkmcnt(0)
	global_load_dwordx2 v[0:1], v0, s[38:39]
	s_getpc_b64 s[4:5]
	s_add_u32 s4, s4, _ZZZZN2at6native12_GLOBAL__N_121bessel_j1_kernel_cudaERNS_18TensorIteratorBaseEENKUlvE_clEvENKUlvE_clEvENKUldE_clEd@rel32@lo+4
	s_addc_u32 s5, s5, _ZZZZN2at6native12_GLOBAL__N_121bessel_j1_kernel_cudaERNS_18TensorIteratorBaseEENKUlvE_clEvENKUlvE_clEvENKUldE_clEd@rel32@hi+12
	s_swappc_b64 s[30:31], s[4:5]
	v_add_u32_e32 v42, 0x80, v42
	global_store_dwordx2 v38, v[0:1], s[36:37]
	s_or_b64 exec, exec, s[64:65]
	v_cmp_gt_i32_e32 vcc, s67, v42
	s_and_saveexec_b64 s[64:65], vcc
	s_cbranch_execz .LBB6_100
.LBB6_110:
	s_andn2_b64 vcc, exec, s[52:53]
	s_cbranch_vccnz .LBB6_115
; %bb.111:
	s_andn2_b64 vcc, exec, s[62:63]
	s_cbranch_vccnz .LBB6_116
; %bb.112:
	s_add_i32 s68, s68, 1
	s_cmp_eq_u32 s66, 2
	s_cbranch_scc1 .LBB6_117
; %bb.113:
	s_and_b32 s26, s68, 28
	v_mov_b32_e32 v0, 0
	s_mov_b32 s27, 0
	s_mov_b64 s[24:25], s[34:35]
	v_mov_b32_e32 v38, 0
	v_mov_b32_e32 v1, v42
.LBB6_114:                              ; =>This Inner Loop Header: Depth=1
	s_load_dwordx8 s[12:19], s[24:25], 0x4
	s_load_dwordx4 s[20:23], s[24:25], 0x24
	s_load_dwordx8 s[4:11], s[60:61], 0x0
	s_add_u32 s24, s24, 48
	s_addc_u32 s25, s25, 0
	s_waitcnt lgkmcnt(0)
	v_mul_hi_u32 v2, s13, v1
	s_add_i32 s27, s27, 4
	s_add_u32 s60, s60, 32
	s_addc_u32 s61, s61, 0
	v_add_u32_e32 v2, v1, v2
	v_lshrrev_b32_e32 v2, s14, v2
	v_mul_lo_u32 v3, v2, s12
	v_mul_hi_u32 v4, s16, v2
	s_cmp_eq_u32 s26, s27
	v_sub_u32_e32 v1, v1, v3
	v_add_u32_e32 v3, v2, v4
	v_mul_lo_u32 v4, v1, s4
	v_mul_lo_u32 v5, v1, s5
	v_lshrrev_b32_e32 v1, s17, v3
	v_mul_lo_u32 v3, v1, s15
	v_mul_hi_u32 v6, s19, v1
	v_sub_u32_e32 v2, v2, v3
	v_add_u32_e32 v3, v1, v6
	v_lshrrev_b32_e32 v3, s20, v3
	v_mul_hi_u32 v7, s22, v3
	v_mul_lo_u32 v8, v3, s18
	v_mul_lo_u32 v6, v2, s6
	;; [unrolled: 1-line block ×3, first 2 shown]
	v_sub_u32_e32 v8, v1, v8
	v_add_u32_e32 v1, v3, v7
	v_lshrrev_b32_e32 v1, s23, v1
	v_mul_lo_u32 v7, v1, s21
	v_mul_lo_u32 v9, v8, s8
	;; [unrolled: 1-line block ×3, first 2 shown]
	v_add3_u32 v4, v4, v38, v6
	v_sub_u32_e32 v3, v3, v7
	v_mul_lo_u32 v7, v3, s10
	v_mul_lo_u32 v3, v3, s11
	v_add3_u32 v0, v5, v0, v2
	v_add3_u32 v38, v9, v4, v7
	;; [unrolled: 1-line block ×3, first 2 shown]
	s_cbranch_scc0 .LBB6_114
	s_branch .LBB6_118
.LBB6_115:
                                        ; implicit-def: $vgpr38
                                        ; implicit-def: $vgpr0
	s_branch .LBB6_122
.LBB6_116:
	v_mov_b32_e32 v38, 0
	v_mov_b32_e32 v0, 0
	s_branch .LBB6_121
.LBB6_117:
	s_mov_b32 s26, 0
	v_mov_b32_e32 v38, 0
	v_mov_b32_e32 v0, 0
	;; [unrolled: 1-line block ×3, first 2 shown]
.LBB6_118:
	s_and_b32 s8, s68, 3
	s_cmp_eq_u32 s8, 0
	s_cbranch_scc1 .LBB6_121
; %bb.119:
	s_lshl_b32 s4, s26, 3
	s_add_u32 s4, s34, s4
	s_addc_u32 s5, s35, 0
	s_add_u32 s4, s4, 0xc4
	s_addc_u32 s5, s5, 0
	s_mul_i32 s6, s26, 12
	s_add_u32 s6, s34, s6
	s_addc_u32 s7, s35, 0
.LBB6_120:                              ; =>This Inner Loop Header: Depth=1
	s_load_dwordx2 s[10:11], s[6:7], 0x4
	s_load_dword s9, s[6:7], 0xc
	s_load_dwordx2 s[12:13], s[4:5], 0x0
	s_add_u32 s6, s6, 12
	s_addc_u32 s7, s7, 0
	s_waitcnt lgkmcnt(0)
	v_mul_hi_u32 v2, s11, v1
	s_add_u32 s4, s4, 8
	s_addc_u32 s5, s5, 0
	s_add_i32 s8, s8, -1
	v_add_u32_e32 v2, v1, v2
	v_lshrrev_b32_e32 v2, s9, v2
	v_mul_lo_u32 v3, v2, s10
	s_cmp_lg_u32 s8, 0
	v_sub_u32_e32 v1, v1, v3
	v_mad_u64_u32 v[38:39], s[10:11], v1, s12, v[38:39]
	v_mad_u64_u32 v[0:1], s[10:11], v1, s13, v[0:1]
	v_mov_b32_e32 v1, v2
	s_cbranch_scc1 .LBB6_120
.LBB6_121:
	s_cbranch_execnz .LBB6_124
.LBB6_122:
	s_waitcnt lgkmcnt(0)
	v_mul_hi_u32 v0, s49, v42
	s_andn2_b64 vcc, exec, s[58:59]
	v_add_u32_e32 v0, v42, v0
	v_lshrrev_b32_e32 v1, s50, v0
	v_mul_lo_u32 v0, v1, s48
	v_sub_u32_e32 v0, v42, v0
	v_mul_lo_u32 v38, v0, s44
	v_mul_lo_u32 v0, v0, s45
	s_cbranch_vccnz .LBB6_124
; %bb.123:
	v_mul_hi_u32 v2, s56, v1
	v_add_u32_e32 v2, v1, v2
	v_lshrrev_b32_e32 v2, s57, v2
	v_mul_lo_u32 v2, v2, s51
	v_sub_u32_e32 v1, v1, v2
	v_mad_u64_u32 v[38:39], s[4:5], v1, s46, v[38:39]
	v_mad_u64_u32 v[0:1], s[4:5], v1, s47, v[0:1]
.LBB6_124:
	s_waitcnt lgkmcnt(0)
	global_load_dwordx2 v[0:1], v0, s[38:39]
	s_getpc_b64 s[4:5]
	s_add_u32 s4, s4, _ZZZZN2at6native12_GLOBAL__N_121bessel_j1_kernel_cudaERNS_18TensorIteratorBaseEENKUlvE_clEvENKUlvE_clEvENKUldE_clEd@rel32@lo+4
	s_addc_u32 s5, s5, _ZZZZN2at6native12_GLOBAL__N_121bessel_j1_kernel_cudaERNS_18TensorIteratorBaseEENKUlvE_clEvENKUlvE_clEvENKUldE_clEd@rel32@hi+12
	s_swappc_b64 s[30:31], s[4:5]
	global_store_dwordx2 v38, v[0:1], s[36:37]
	s_or_b64 exec, exec, s[64:65]
                                        ; implicit-def: $vgpr2
                                        ; implicit-def: $vgpr42
	s_andn2_saveexec_b64 s[4:5], s[54:55]
	s_cbranch_execz .LBB6_101
	s_branch .LBB6_8
	.section	.rodata,"a",@progbits
	.p2align	6, 0x0
	.amdhsa_kernel _ZN2at6native32elementwise_kernel_manual_unrollILi128ELi4EZNS0_22gpu_kernel_impl_nocastIZZZNS0_12_GLOBAL__N_121bessel_j1_kernel_cudaERNS_18TensorIteratorBaseEENKUlvE_clEvENKUlvE_clEvEUldE_EEvS5_RKT_EUlibE_EEviT1_
		.amdhsa_group_segment_fixed_size 0
		.amdhsa_private_segment_fixed_size 0
		.amdhsa_kernarg_size 360
		.amdhsa_user_sgpr_count 6
		.amdhsa_user_sgpr_private_segment_buffer 1
		.amdhsa_user_sgpr_dispatch_ptr 0
		.amdhsa_user_sgpr_queue_ptr 0
		.amdhsa_user_sgpr_kernarg_segment_ptr 1
		.amdhsa_user_sgpr_dispatch_id 0
		.amdhsa_user_sgpr_flat_scratch_init 0
		.amdhsa_user_sgpr_private_segment_size 0
		.amdhsa_uses_dynamic_stack 0
		.amdhsa_system_sgpr_private_segment_wavefront_offset 0
		.amdhsa_system_sgpr_workgroup_id_x 1
		.amdhsa_system_sgpr_workgroup_id_y 0
		.amdhsa_system_sgpr_workgroup_id_z 0
		.amdhsa_system_sgpr_workgroup_info 0
		.amdhsa_system_vgpr_workitem_id 0
		.amdhsa_next_free_vgpr 51
		.amdhsa_next_free_sgpr 69
		.amdhsa_reserve_vcc 1
		.amdhsa_reserve_flat_scratch 0
		.amdhsa_float_round_mode_32 0
		.amdhsa_float_round_mode_16_64 0
		.amdhsa_float_denorm_mode_32 3
		.amdhsa_float_denorm_mode_16_64 3
		.amdhsa_dx10_clamp 1
		.amdhsa_ieee_mode 1
		.amdhsa_fp16_overflow 0
		.amdhsa_exception_fp_ieee_invalid_op 0
		.amdhsa_exception_fp_denorm_src 0
		.amdhsa_exception_fp_ieee_div_zero 0
		.amdhsa_exception_fp_ieee_overflow 0
		.amdhsa_exception_fp_ieee_underflow 0
		.amdhsa_exception_fp_ieee_inexact 0
		.amdhsa_exception_int_div_zero 0
	.end_amdhsa_kernel
	.section	.text._ZN2at6native32elementwise_kernel_manual_unrollILi128ELi4EZNS0_22gpu_kernel_impl_nocastIZZZNS0_12_GLOBAL__N_121bessel_j1_kernel_cudaERNS_18TensorIteratorBaseEENKUlvE_clEvENKUlvE_clEvEUldE_EEvS5_RKT_EUlibE_EEviT1_,"axG",@progbits,_ZN2at6native32elementwise_kernel_manual_unrollILi128ELi4EZNS0_22gpu_kernel_impl_nocastIZZZNS0_12_GLOBAL__N_121bessel_j1_kernel_cudaERNS_18TensorIteratorBaseEENKUlvE_clEvENKUlvE_clEvEUldE_EEvS5_RKT_EUlibE_EEviT1_,comdat
.Lfunc_end6:
	.size	_ZN2at6native32elementwise_kernel_manual_unrollILi128ELi4EZNS0_22gpu_kernel_impl_nocastIZZZNS0_12_GLOBAL__N_121bessel_j1_kernel_cudaERNS_18TensorIteratorBaseEENKUlvE_clEvENKUlvE_clEvEUldE_EEvS5_RKT_EUlibE_EEviT1_, .Lfunc_end6-_ZN2at6native32elementwise_kernel_manual_unrollILi128ELi4EZNS0_22gpu_kernel_impl_nocastIZZZNS0_12_GLOBAL__N_121bessel_j1_kernel_cudaERNS_18TensorIteratorBaseEENKUlvE_clEvENKUlvE_clEvEUldE_EEvS5_RKT_EUlibE_EEviT1_
                                        ; -- End function
	.set _ZN2at6native32elementwise_kernel_manual_unrollILi128ELi4EZNS0_22gpu_kernel_impl_nocastIZZZNS0_12_GLOBAL__N_121bessel_j1_kernel_cudaERNS_18TensorIteratorBaseEENKUlvE_clEvENKUlvE_clEvEUldE_EEvS5_RKT_EUlibE_EEviT1_.num_vgpr, max(51, .L_ZZZZN2at6native12_GLOBAL__N_121bessel_j1_kernel_cudaERNS_18TensorIteratorBaseEENKUlvE_clEvENKUlvE_clEvENKUldE_clEd.num_vgpr)
	.set _ZN2at6native32elementwise_kernel_manual_unrollILi128ELi4EZNS0_22gpu_kernel_impl_nocastIZZZNS0_12_GLOBAL__N_121bessel_j1_kernel_cudaERNS_18TensorIteratorBaseEENKUlvE_clEvENKUlvE_clEvEUldE_EEvS5_RKT_EUlibE_EEviT1_.num_agpr, max(0, .L_ZZZZN2at6native12_GLOBAL__N_121bessel_j1_kernel_cudaERNS_18TensorIteratorBaseEENKUlvE_clEvENKUlvE_clEvENKUldE_clEd.num_agpr)
	.set _ZN2at6native32elementwise_kernel_manual_unrollILi128ELi4EZNS0_22gpu_kernel_impl_nocastIZZZNS0_12_GLOBAL__N_121bessel_j1_kernel_cudaERNS_18TensorIteratorBaseEENKUlvE_clEvENKUlvE_clEvEUldE_EEvS5_RKT_EUlibE_EEviT1_.numbered_sgpr, max(69, .L_ZZZZN2at6native12_GLOBAL__N_121bessel_j1_kernel_cudaERNS_18TensorIteratorBaseEENKUlvE_clEvENKUlvE_clEvENKUldE_clEd.numbered_sgpr)
	.set _ZN2at6native32elementwise_kernel_manual_unrollILi128ELi4EZNS0_22gpu_kernel_impl_nocastIZZZNS0_12_GLOBAL__N_121bessel_j1_kernel_cudaERNS_18TensorIteratorBaseEENKUlvE_clEvENKUlvE_clEvEUldE_EEvS5_RKT_EUlibE_EEviT1_.num_named_barrier, max(0, .L_ZZZZN2at6native12_GLOBAL__N_121bessel_j1_kernel_cudaERNS_18TensorIteratorBaseEENKUlvE_clEvENKUlvE_clEvENKUldE_clEd.num_named_barrier)
	.set _ZN2at6native32elementwise_kernel_manual_unrollILi128ELi4EZNS0_22gpu_kernel_impl_nocastIZZZNS0_12_GLOBAL__N_121bessel_j1_kernel_cudaERNS_18TensorIteratorBaseEENKUlvE_clEvENKUlvE_clEvEUldE_EEvS5_RKT_EUlibE_EEviT1_.private_seg_size, 0+max(.L_ZZZZN2at6native12_GLOBAL__N_121bessel_j1_kernel_cudaERNS_18TensorIteratorBaseEENKUlvE_clEvENKUlvE_clEvENKUldE_clEd.private_seg_size)
	.set _ZN2at6native32elementwise_kernel_manual_unrollILi128ELi4EZNS0_22gpu_kernel_impl_nocastIZZZNS0_12_GLOBAL__N_121bessel_j1_kernel_cudaERNS_18TensorIteratorBaseEENKUlvE_clEvENKUlvE_clEvEUldE_EEvS5_RKT_EUlibE_EEviT1_.uses_vcc, or(1, .L_ZZZZN2at6native12_GLOBAL__N_121bessel_j1_kernel_cudaERNS_18TensorIteratorBaseEENKUlvE_clEvENKUlvE_clEvENKUldE_clEd.uses_vcc)
	.set _ZN2at6native32elementwise_kernel_manual_unrollILi128ELi4EZNS0_22gpu_kernel_impl_nocastIZZZNS0_12_GLOBAL__N_121bessel_j1_kernel_cudaERNS_18TensorIteratorBaseEENKUlvE_clEvENKUlvE_clEvEUldE_EEvS5_RKT_EUlibE_EEviT1_.uses_flat_scratch, or(0, .L_ZZZZN2at6native12_GLOBAL__N_121bessel_j1_kernel_cudaERNS_18TensorIteratorBaseEENKUlvE_clEvENKUlvE_clEvENKUldE_clEd.uses_flat_scratch)
	.set _ZN2at6native32elementwise_kernel_manual_unrollILi128ELi4EZNS0_22gpu_kernel_impl_nocastIZZZNS0_12_GLOBAL__N_121bessel_j1_kernel_cudaERNS_18TensorIteratorBaseEENKUlvE_clEvENKUlvE_clEvEUldE_EEvS5_RKT_EUlibE_EEviT1_.has_dyn_sized_stack, or(0, .L_ZZZZN2at6native12_GLOBAL__N_121bessel_j1_kernel_cudaERNS_18TensorIteratorBaseEENKUlvE_clEvENKUlvE_clEvENKUldE_clEd.has_dyn_sized_stack)
	.set _ZN2at6native32elementwise_kernel_manual_unrollILi128ELi4EZNS0_22gpu_kernel_impl_nocastIZZZNS0_12_GLOBAL__N_121bessel_j1_kernel_cudaERNS_18TensorIteratorBaseEENKUlvE_clEvENKUlvE_clEvEUldE_EEvS5_RKT_EUlibE_EEviT1_.has_recursion, or(0, .L_ZZZZN2at6native12_GLOBAL__N_121bessel_j1_kernel_cudaERNS_18TensorIteratorBaseEENKUlvE_clEvENKUlvE_clEvENKUldE_clEd.has_recursion)
	.set _ZN2at6native32elementwise_kernel_manual_unrollILi128ELi4EZNS0_22gpu_kernel_impl_nocastIZZZNS0_12_GLOBAL__N_121bessel_j1_kernel_cudaERNS_18TensorIteratorBaseEENKUlvE_clEvENKUlvE_clEvEUldE_EEvS5_RKT_EUlibE_EEviT1_.has_indirect_call, or(0, .L_ZZZZN2at6native12_GLOBAL__N_121bessel_j1_kernel_cudaERNS_18TensorIteratorBaseEENKUlvE_clEvENKUlvE_clEvENKUldE_clEd.has_indirect_call)
	.section	.AMDGPU.csdata,"",@progbits
; Kernel info:
; codeLenInByte = 5816
; TotalNumSgprs: 73
; NumVgprs: 51
; ScratchSize: 0
; MemoryBound: 0
; FloatMode: 240
; IeeeMode: 1
; LDSByteSize: 0 bytes/workgroup (compile time only)
; SGPRBlocks: 9
; VGPRBlocks: 12
; NumSGPRsForWavesPerEU: 73
; NumVGPRsForWavesPerEU: 51
; Occupancy: 4
; WaveLimiterHint : 1
; COMPUTE_PGM_RSRC2:SCRATCH_EN: 0
; COMPUTE_PGM_RSRC2:USER_SGPR: 6
; COMPUTE_PGM_RSRC2:TRAP_HANDLER: 0
; COMPUTE_PGM_RSRC2:TGID_X_EN: 1
; COMPUTE_PGM_RSRC2:TGID_Y_EN: 0
; COMPUTE_PGM_RSRC2:TGID_Z_EN: 0
; COMPUTE_PGM_RSRC2:TIDIG_COMP_CNT: 0
	.section	.text._ZN2at6native32elementwise_kernel_manual_unrollILi128ELi4EZNS0_15gpu_kernel_implIZZZNS0_12_GLOBAL__N_121bessel_j1_kernel_cudaERNS_18TensorIteratorBaseEENKUlvE_clEvENKUlvE_clEvEUldE_EEvS5_RKT_EUlibE_EEviT1_,"axG",@progbits,_ZN2at6native32elementwise_kernel_manual_unrollILi128ELi4EZNS0_15gpu_kernel_implIZZZNS0_12_GLOBAL__N_121bessel_j1_kernel_cudaERNS_18TensorIteratorBaseEENKUlvE_clEvENKUlvE_clEvEUldE_EEvS5_RKT_EUlibE_EEviT1_,comdat
	.globl	_ZN2at6native32elementwise_kernel_manual_unrollILi128ELi4EZNS0_15gpu_kernel_implIZZZNS0_12_GLOBAL__N_121bessel_j1_kernel_cudaERNS_18TensorIteratorBaseEENKUlvE_clEvENKUlvE_clEvEUldE_EEvS5_RKT_EUlibE_EEviT1_ ; -- Begin function _ZN2at6native32elementwise_kernel_manual_unrollILi128ELi4EZNS0_15gpu_kernel_implIZZZNS0_12_GLOBAL__N_121bessel_j1_kernel_cudaERNS_18TensorIteratorBaseEENKUlvE_clEvENKUlvE_clEvEUldE_EEvS5_RKT_EUlibE_EEviT1_
	.p2align	8
	.type	_ZN2at6native32elementwise_kernel_manual_unrollILi128ELi4EZNS0_15gpu_kernel_implIZZZNS0_12_GLOBAL__N_121bessel_j1_kernel_cudaERNS_18TensorIteratorBaseEENKUlvE_clEvENKUlvE_clEvEUldE_EEvS5_RKT_EUlibE_EEviT1_,@function
_ZN2at6native32elementwise_kernel_manual_unrollILi128ELi4EZNS0_15gpu_kernel_implIZZZNS0_12_GLOBAL__N_121bessel_j1_kernel_cudaERNS_18TensorIteratorBaseEENKUlvE_clEvENKUlvE_clEvEUldE_EEvS5_RKT_EUlibE_EEviT1_: ; @_ZN2at6native32elementwise_kernel_manual_unrollILi128ELi4EZNS0_15gpu_kernel_implIZZZNS0_12_GLOBAL__N_121bessel_j1_kernel_cudaERNS_18TensorIteratorBaseEENKUlvE_clEvENKUlvE_clEvEUldE_EEvS5_RKT_EUlibE_EEviT1_
; %bb.0:
	v_mov_b32_e32 v1, 0
	global_load_ushort v1, v1, s[4:5] offset:33
	s_load_dwordx4 s[36:39], s[4:5], 0x8
	s_load_dwordx2 s[34:35], s[4:5], 0x18
	s_load_dword s65, s[4:5], 0x0
	s_add_u32 s0, s0, s7
	v_lshl_or_b32 v44, s6, 9, v0
	s_addc_u32 s1, s1, 0
	v_or_b32_e32 v0, 0x180, v44
	s_mov_b64 s[44:45], 0
	s_waitcnt lgkmcnt(0)
	v_cmp_le_i32_e32 vcc, s65, v0
	s_mov_b64 s[48:49], 0
	s_mov_b32 s32, 0
	s_waitcnt vmcnt(0)
	v_readfirstlane_b32 s33, v1
	s_and_b32 s4, 0xffff, s33
	s_lshr_b32 s64, s4, 8
	s_and_saveexec_b64 s[4:5], vcc
	s_xor_b64 s[46:47], exec, s[4:5]
	s_cbranch_execz .LBB7_1026
; %bb.1:
	v_cmp_gt_i32_e32 vcc, s65, v44
	s_mov_b64 s[6:7], -1
	s_mov_b64 s[56:57], 0
	s_mov_b64 s[50:51], 0
	s_and_saveexec_b64 s[52:53], vcc
	s_cbranch_execz .LBB7_251
; %bb.2:
	v_mul_lo_u32 v0, v44, s35
	v_mov_b32_e32 v1, s39
	s_and_b32 s10, 0xffff, s64
	s_cmp_lt_i32 s10, 11
	v_ashrrev_i32_e32 v3, 31, v0
	v_add_co_u32_e32 v2, vcc, s38, v0
	v_addc_co_u32_e32 v3, vcc, v1, v3, vcc
	s_cbranch_scc1 .LBB7_9
; %bb.3:
	s_cmp_gt_i32 s10, 25
	s_cbranch_scc0 .LBB7_18
; %bb.4:
	s_cmp_gt_i32 s10, 28
	s_cbranch_scc0 .LBB7_22
	;; [unrolled: 3-line block ×4, first 2 shown]
; %bb.7:
	s_cmp_eq_u32 s10, 46
	s_mov_b64 s[6:7], 0
	s_cbranch_scc0 .LBB7_27
; %bb.8:
	global_load_dword v0, v[2:3], off
	s_mov_b64 s[4:5], -1
	s_waitcnt vmcnt(0)
	v_lshlrev_b32_e32 v0, 16, v0
	v_cvt_f64_f32_e32 v[0:1], v0
	s_branch .LBB7_29
.LBB7_9:
                                        ; implicit-def: $vgpr0_vgpr1
	s_mov_b64 s[4:5], 0
	s_and_b64 vcc, exec, s[6:7]
	s_cbranch_vccnz .LBB7_202
.LBB7_10:
	s_andn2_b64 vcc, exec, s[4:5]
	s_cbranch_vccnz .LBB7_249
.LBB7_11:
	s_getpc_b64 s[4:5]
	s_add_u32 s4, s4, _ZZZZN2at6native12_GLOBAL__N_121bessel_j1_kernel_cudaERNS_18TensorIteratorBaseEENKUlvE_clEvENKUlvE_clEvENKUldE_clEd@rel32@lo+4
	s_addc_u32 s5, s5, _ZZZZN2at6native12_GLOBAL__N_121bessel_j1_kernel_cudaERNS_18TensorIteratorBaseEENKUlvE_clEvENKUlvE_clEvENKUldE_clEd@rel32@hi+12
	s_swappc_b64 s[30:31], s[4:5]
	v_mul_lo_u32 v2, v44, s34
	v_mov_b32_e32 v5, s37
	s_and_b32 s12, s33, 0xff
	s_cmp_lt_i32 s12, 11
	v_ashrrev_i32_e32 v3, 31, v2
	v_add_co_u32_e32 v4, vcc, s36, v2
	v_addc_co_u32_e32 v5, vcc, v5, v3, vcc
	s_cbranch_scc1 .LBB7_19
; %bb.12:
	s_and_b32 s13, 0xffff, s12
	s_cmp_gt_i32 s13, 25
	s_cbranch_scc0 .LBB7_23
; %bb.13:
	s_cmp_gt_i32 s13, 28
	s_cbranch_scc0 .LBB7_25
; %bb.14:
	;; [unrolled: 3-line block ×4, first 2 shown]
	s_mov_b64 s[8:9], 0
	s_mov_b64 s[4:5], -1
	s_cmp_eq_u32 s13, 46
	s_mov_b64 s[6:7], 0
	s_cbranch_scc0 .LBB7_33
; %bb.17:
	v_cvt_f32_f64_e32 v2, v[0:1]
	s_movk_i32 s4, 0x7fff
	v_mov_b32_e32 v3, 0x7fc0
	s_mov_b64 s[6:7], -1
	v_bfe_u32 v6, v2, 16, 1
	v_cmp_o_f32_e32 vcc, v2, v2
	v_add3_u32 v2, v2, v6, s4
	v_cndmask_b32_sdwa v2, v3, v2, vcc dst_sel:DWORD dst_unused:UNUSED_PAD src0_sel:DWORD src1_sel:WORD_1
	global_store_dword v[4:5], v2, off
	s_mov_b64 s[4:5], 0
	s_branch .LBB7_33
.LBB7_18:
	s_mov_b64 s[4:5], 0
                                        ; implicit-def: $vgpr0_vgpr1
	s_and_b64 vcc, exec, s[6:7]
	s_cbranch_vccnz .LBB7_169
	s_branch .LBB7_201
.LBB7_19:
	s_mov_b64 s[4:5], 0
	s_mov_b64 s[6:7], 0
	s_cbranch_execnz .LBB7_102
.LBB7_20:
	s_andn2_b64 vcc, exec, s[6:7]
	s_cbranch_vccnz .LBB7_140
.LBB7_21:
	v_add_u32_e32 v44, 0x80, v44
	s_mov_b64 s[6:7], -1
	s_branch .LBB7_250
.LBB7_22:
	s_mov_b64 s[4:5], 0
                                        ; implicit-def: $vgpr0_vgpr1
	s_branch .LBB7_148
.LBB7_23:
	s_mov_b64 s[8:9], -1
	s_mov_b64 s[4:5], 0
	s_mov_b64 s[6:7], 0
	s_branch .LBB7_60
.LBB7_24:
	s_mov_b64 s[4:5], 0
                                        ; implicit-def: $vgpr0_vgpr1
	s_branch .LBB7_143
.LBB7_25:
	s_mov_b64 s[8:9], -1
	s_mov_b64 s[4:5], 0
	s_mov_b64 s[6:7], 0
	s_branch .LBB7_43
.LBB7_26:
	s_mov_b64 s[8:9], -1
	s_mov_b64 s[4:5], 0
	s_mov_b64 s[6:7], 0
	s_branch .LBB7_39
.LBB7_27:
	s_mov_b64 s[50:51], -1
.LBB7_28:
	s_mov_b64 s[4:5], 0
                                        ; implicit-def: $vgpr0_vgpr1
.LBB7_29:
	s_and_b64 vcc, exec, s[6:7]
	s_cbranch_vccz .LBB7_142
; %bb.30:
	s_cmp_eq_u32 s10, 44
	s_cbranch_scc0 .LBB7_141
; %bb.31:
	global_load_ubyte v4, v[2:3], off
	s_movk_i32 s6, 0xff
	v_bfrev_b32_e32 v5, 4
	v_mov_b32_e32 v6, 0x7ff80000
	v_bfrev_b32_e32 v7, 28
	s_mov_b64 s[4:5], -1
	s_mov_b64 s[50:51], 0
	s_waitcnt vmcnt(0)
	v_lshlrev_b32_e32 v0, 23, v4
	v_cvt_f64_f32_e32 v[0:1], v0
	v_cmp_ne_u32_e32 vcc, s6, v4
	v_cndmask_b32_e32 v0, v5, v0, vcc
	v_cndmask_b32_e32 v1, v6, v1, vcc
	v_cmp_ne_u32_e32 vcc, 0, v4
	v_cndmask_b32_e32 v1, v7, v1, vcc
	v_cndmask_b32_e32 v0, 0, v0, vcc
	s_branch .LBB7_142
.LBB7_32:
	s_mov_b64 s[8:9], -1
	s_mov_b64 s[4:5], 0
	s_mov_b64 s[6:7], 0
.LBB7_33:
	s_and_b64 vcc, exec, s[8:9]
	s_cbranch_vccz .LBB7_38
; %bb.34:
	s_cmp_eq_u32 s13, 44
	s_mov_b64 s[4:5], -1
	s_cbranch_scc0 .LBB7_38
; %bb.35:
	v_cvt_f32_f64_e32 v2, v[0:1]
	s_movk_i32 s4, 0xff
	v_mov_b32_e32 v6, 0xff
	v_bfe_u32 v3, v2, 23, 8
	v_cmp_ne_u32_e32 vcc, s4, v3
	s_and_saveexec_b64 s[6:7], vcc
; %bb.36:
	s_mov_b32 s4, 0x3fffff
	v_lshrrev_b32_e32 v6, 23, v2
	v_and_b32_e32 v7, 0x400000, v2
	v_and_or_b32 v2, v2, s4, v3
	v_cmp_ne_u32_e32 vcc, 0, v7
	v_cmp_ne_u32_e64 s[4:5], 0, v2
	s_and_b64 s[4:5], vcc, s[4:5]
	v_cndmask_b32_e64 v2, 0, 1, s[4:5]
	v_add_u32_e32 v6, v6, v2
; %bb.37:
	s_or_b64 exec, exec, s[6:7]
	s_mov_b64 s[6:7], -1
	s_mov_b64 s[4:5], 0
	global_store_byte v[4:5], v6, off
.LBB7_38:
	s_mov_b64 s[8:9], 0
.LBB7_39:
	s_and_b64 vcc, exec, s[8:9]
	s_cbranch_vccz .LBB7_42
; %bb.40:
	s_cmp_eq_u32 s13, 29
	s_mov_b64 s[4:5], -1
	s_cbranch_scc0 .LBB7_42
; %bb.41:
	v_trunc_f64_e32 v[2:3], v[0:1]
	s_movk_i32 s4, 0xffe0
	s_mov_b64 s[6:7], -1
	s_mov_b64 s[8:9], 0
	v_ldexp_f64 v[6:7], v[2:3], s4
	s_mov_b32 s4, 0
	s_mov_b32 s5, 0xc1f00000
	v_floor_f64_e32 v[6:7], v[6:7]
	v_fma_f64 v[2:3], v[6:7], s[4:5], v[2:3]
	v_cvt_u32_f64_e32 v7, v[6:7]
	s_mov_b64 s[4:5], 0
	v_cvt_u32_f64_e32 v6, v[2:3]
	global_store_dwordx2 v[4:5], v[6:7], off
	s_branch .LBB7_43
.LBB7_42:
	s_mov_b64 s[8:9], 0
.LBB7_43:
	s_and_b64 vcc, exec, s[8:9]
	s_cbranch_vccz .LBB7_59
; %bb.44:
	s_cmp_lt_i32 s13, 27
	s_mov_b64 s[6:7], -1
	s_cbranch_scc1 .LBB7_50
; %bb.45:
	v_cvt_u32_f64_e32 v2, v[0:1]
	s_cmp_gt_i32 s13, 27
	s_cbranch_scc0 .LBB7_47
; %bb.46:
	s_mov_b64 s[6:7], 0
	global_store_dword v[4:5], v2, off
.LBB7_47:
	s_andn2_b64 vcc, exec, s[6:7]
	s_cbranch_vccnz .LBB7_49
; %bb.48:
	global_store_short v[4:5], v2, off
.LBB7_49:
	s_mov_b64 s[6:7], 0
.LBB7_50:
	s_andn2_b64 vcc, exec, s[6:7]
	s_cbranch_vccnz .LBB7_58
; %bb.51:
	v_cvt_f32_f64_e32 v2, v[0:1]
	s_mov_b32 s6, 0x43800000
	v_mov_b32_e32 v6, 0x80
	v_and_b32_e32 v3, 0x7fffffff, v2
	v_cmp_gt_u32_e32 vcc, s6, v3
	s_and_saveexec_b64 s[6:7], vcc
	s_cbranch_execz .LBB7_57
; %bb.52:
	s_mov_b32 s8, 0x3bffffff
	v_cmp_lt_u32_e32 vcc, s8, v3
	s_mov_b64 s[8:9], 0
                                        ; implicit-def: $vgpr3
	s_and_saveexec_b64 s[10:11], vcc
	s_xor_b64 s[10:11], exec, s[10:11]
	s_cbranch_execz .LBB7_278
; %bb.53:
	v_bfe_u32 v3, v2, 20, 1
	s_mov_b32 s14, 0x487ffff
	v_add3_u32 v3, v2, v3, s14
	s_mov_b64 s[8:9], exec
	v_lshrrev_b32_e32 v3, 20, v3
	s_andn2_saveexec_b64 s[10:11], s[10:11]
	s_cbranch_execnz .LBB7_279
.LBB7_54:
	s_or_b64 exec, exec, s[10:11]
	v_mov_b32_e32 v6, 0
	s_and_saveexec_b64 s[10:11], s[8:9]
.LBB7_55:
	v_lshrrev_b32_e32 v2, 24, v2
	s_movk_i32 s8, 0x80
	v_and_or_b32 v6, v2, s8, v3
.LBB7_56:
	s_or_b64 exec, exec, s[10:11]
.LBB7_57:
	s_or_b64 exec, exec, s[6:7]
	global_store_byte v[4:5], v6, off
.LBB7_58:
	s_mov_b64 s[6:7], -1
.LBB7_59:
	s_mov_b64 s[8:9], 0
.LBB7_60:
	s_and_b64 vcc, exec, s[8:9]
	s_cbranch_vccz .LBB7_101
; %bb.61:
	s_cmp_gt_i32 s13, 22
	s_mov_b64 s[8:9], -1
	s_cbranch_scc0 .LBB7_93
; %bb.62:
	s_cmp_lt_i32 s13, 24
	s_mov_b64 s[6:7], -1
	s_cbranch_scc1 .LBB7_82
; %bb.63:
	s_cmp_gt_i32 s13, 24
	s_cbranch_scc0 .LBB7_71
; %bb.64:
	v_cvt_f32_f64_e32 v2, v[0:1]
	s_mov_b32 s6, 0x47800000
	v_mov_b32_e32 v6, 0x80
	v_and_b32_e32 v3, 0x7fffffff, v2
	v_cmp_gt_u32_e32 vcc, s6, v3
	s_and_saveexec_b64 s[6:7], vcc
	s_cbranch_execz .LBB7_70
; %bb.65:
	s_mov_b32 s8, 0x37ffffff
	v_cmp_lt_u32_e32 vcc, s8, v3
	s_mov_b64 s[8:9], 0
                                        ; implicit-def: $vgpr3
	s_and_saveexec_b64 s[10:11], vcc
	s_xor_b64 s[10:11], exec, s[10:11]
	s_cbranch_execz .LBB7_282
; %bb.66:
	v_bfe_u32 v3, v2, 21, 1
	s_mov_b32 s14, 0x88fffff
	v_add3_u32 v3, v2, v3, s14
	s_mov_b64 s[8:9], exec
	v_lshrrev_b32_e32 v3, 21, v3
	s_andn2_saveexec_b64 s[10:11], s[10:11]
	s_cbranch_execnz .LBB7_283
.LBB7_67:
	s_or_b64 exec, exec, s[10:11]
	v_mov_b32_e32 v6, 0
	s_and_saveexec_b64 s[10:11], s[8:9]
.LBB7_68:
	v_lshrrev_b32_e32 v2, 24, v2
	s_movk_i32 s8, 0x80
	v_and_or_b32 v6, v2, s8, v3
.LBB7_69:
	s_or_b64 exec, exec, s[10:11]
.LBB7_70:
	s_or_b64 exec, exec, s[6:7]
	s_mov_b64 s[6:7], 0
	global_store_byte v[4:5], v6, off
.LBB7_71:
	s_and_b64 vcc, exec, s[6:7]
	s_cbranch_vccz .LBB7_81
; %bb.72:
	v_cvt_f32_f64_e32 v2, v[0:1]
	s_mov_b32 s6, 0x43f00000
                                        ; implicit-def: $vgpr3
	v_and_b32_e32 v6, 0x7fffffff, v2
	v_cmp_gt_u32_e32 vcc, s6, v6
	s_and_saveexec_b64 s[6:7], vcc
	s_xor_b64 s[6:7], exec, s[6:7]
	s_cbranch_execz .LBB7_78
; %bb.73:
	s_mov_b32 s8, 0x3c7fffff
	v_cmp_lt_u32_e32 vcc, s8, v6
                                        ; implicit-def: $vgpr3
	s_and_saveexec_b64 s[8:9], vcc
	s_xor_b64 s[8:9], exec, s[8:9]
; %bb.74:
	v_bfe_u32 v3, v2, 20, 1
	s_mov_b32 s10, 0x407ffff
	v_add3_u32 v3, v2, v3, s10
	v_lshrrev_b32_e32 v6, 20, v3
	v_and_b32_e32 v3, 0xff00000, v3
	s_mov_b32 s10, 0x7f00000
	v_mov_b32_e32 v7, 0x7e
	v_cmp_ne_u32_e32 vcc, s10, v3
	v_cndmask_b32_e32 v3, v7, v6, vcc
; %bb.75:
	s_andn2_saveexec_b64 s[8:9], s[8:9]
; %bb.76:
	s_mov_b32 s10, 0x46800000
	v_add_f32_e64 v3, |v2|, s10
; %bb.77:
	s_or_b64 exec, exec, s[8:9]
                                        ; implicit-def: $vgpr6
.LBB7_78:
	s_andn2_saveexec_b64 s[6:7], s[6:7]
; %bb.79:
	s_mov_b32 s8, 0x7f800000
	v_mov_b32_e32 v3, 0x7e
	v_mov_b32_e32 v7, 0x7f
	v_cmp_lt_u32_e32 vcc, s8, v6
	v_cndmask_b32_e32 v3, v3, v7, vcc
; %bb.80:
	s_or_b64 exec, exec, s[6:7]
	v_lshrrev_b32_e32 v2, 24, v2
	s_movk_i32 s6, 0x80
	v_and_or_b32 v2, v2, s6, v3
	global_store_byte v[4:5], v2, off
.LBB7_81:
	s_mov_b64 s[6:7], 0
.LBB7_82:
	s_andn2_b64 vcc, exec, s[6:7]
	s_cbranch_vccnz .LBB7_92
; %bb.83:
	v_cvt_f32_f64_e32 v2, v[0:1]
	s_mov_b32 s6, 0x47800000
                                        ; implicit-def: $vgpr3
	v_and_b32_e32 v6, 0x7fffffff, v2
	v_cmp_gt_u32_e32 vcc, s6, v6
	s_and_saveexec_b64 s[6:7], vcc
	s_xor_b64 s[6:7], exec, s[6:7]
	s_cbranch_execz .LBB7_89
; %bb.84:
	s_mov_b32 s8, 0x387fffff
	v_cmp_lt_u32_e32 vcc, s8, v6
                                        ; implicit-def: $vgpr3
	s_and_saveexec_b64 s[8:9], vcc
	s_xor_b64 s[8:9], exec, s[8:9]
; %bb.85:
	v_bfe_u32 v3, v2, 21, 1
	s_mov_b32 s10, 0x80fffff
	v_add3_u32 v3, v2, v3, s10
	v_lshrrev_b32_e32 v3, 21, v3
; %bb.86:
	s_andn2_saveexec_b64 s[8:9], s[8:9]
; %bb.87:
	s_mov_b32 s10, 0x43000000
	v_add_f32_e64 v3, |v2|, s10
; %bb.88:
	s_or_b64 exec, exec, s[8:9]
                                        ; implicit-def: $vgpr6
.LBB7_89:
	s_andn2_saveexec_b64 s[6:7], s[6:7]
; %bb.90:
	s_mov_b32 s8, 0x7f800000
	v_mov_b32_e32 v3, 0x7c
	v_mov_b32_e32 v7, 0x7f
	v_cmp_lt_u32_e32 vcc, s8, v6
	v_cndmask_b32_e32 v3, v3, v7, vcc
; %bb.91:
	s_or_b64 exec, exec, s[6:7]
	v_lshrrev_b32_e32 v2, 24, v2
	s_movk_i32 s6, 0x80
	v_and_or_b32 v2, v2, s6, v3
	global_store_byte v[4:5], v2, off
.LBB7_92:
	s_mov_b64 s[8:9], 0
	s_mov_b64 s[6:7], -1
.LBB7_93:
	s_andn2_b64 vcc, exec, s[8:9]
	s_cbranch_vccnz .LBB7_101
; %bb.94:
	s_cmp_gt_i32 s13, 14
	s_mov_b64 s[8:9], -1
	s_cbranch_scc0 .LBB7_98
; %bb.95:
	s_cmp_eq_u32 s13, 15
	s_mov_b64 s[4:5], -1
	s_cbranch_scc0 .LBB7_97
; %bb.96:
	v_cvt_f32_f64_e32 v2, v[0:1]
	s_movk_i32 s4, 0x7fff
	v_mov_b32_e32 v3, 0x7fc0
	s_mov_b64 s[6:7], -1
	v_bfe_u32 v6, v2, 16, 1
	v_cmp_o_f32_e32 vcc, v2, v2
	v_add3_u32 v2, v2, v6, s4
	v_cndmask_b32_sdwa v2, v3, v2, vcc dst_sel:DWORD dst_unused:UNUSED_PAD src0_sel:DWORD src1_sel:WORD_1
	global_store_short v[4:5], v2, off
	s_mov_b64 s[4:5], 0
.LBB7_97:
	s_mov_b64 s[8:9], 0
.LBB7_98:
	s_and_b64 vcc, exec, s[8:9]
	s_cbranch_vccz .LBB7_101
; %bb.99:
	s_cmp_eq_u32 s13, 11
	s_mov_b64 s[4:5], -1
	s_cbranch_scc0 .LBB7_101
; %bb.100:
	v_cmp_neq_f64_e32 vcc, 0, v[0:1]
	s_mov_b64 s[4:5], 0
	s_mov_b64 s[6:7], -1
	v_cndmask_b32_e64 v2, 0, 1, vcc
	global_store_byte v[4:5], v2, off
.LBB7_101:
	s_branch .LBB7_20
.LBB7_102:
	s_and_b32 s8, 0xffff, s12
	s_cmp_lt_i32 s8, 5
	s_mov_b64 s[6:7], -1
	s_cbranch_scc1 .LBB7_123
; %bb.103:
	s_cmp_lt_i32 s8, 8
	s_cbranch_scc1 .LBB7_113
; %bb.104:
	s_cmp_lt_i32 s8, 9
	s_cbranch_scc1 .LBB7_110
; %bb.105:
	s_cmp_gt_i32 s8, 9
	s_cbranch_scc0 .LBB7_107
; %bb.106:
	v_mov_b32_e32 v2, 0
	v_mov_b32_e32 v3, v2
	global_store_dwordx4 v[4:5], v[0:3], off
	s_mov_b64 s[6:7], 0
.LBB7_107:
	s_andn2_b64 vcc, exec, s[6:7]
	s_cbranch_vccnz .LBB7_109
; %bb.108:
	v_cvt_f32_f64_e32 v2, v[0:1]
	v_mov_b32_e32 v3, 0
	global_store_dwordx2 v[4:5], v[2:3], off
.LBB7_109:
	s_mov_b64 s[6:7], 0
.LBB7_110:
	s_andn2_b64 vcc, exec, s[6:7]
	s_cbranch_vccnz .LBB7_112
; %bb.111:
	s_movk_i32 s6, 0x1ff
	v_and_or_b32 v2, v1, s6, v0
	v_cmp_ne_u32_e32 vcc, 0, v2
	v_cndmask_b32_e64 v2, 0, 1, vcc
	v_lshrrev_b32_e32 v3, 8, v1
	s_movk_i32 s6, 0xffe
	v_bfe_u32 v6, v1, 20, 11
	v_and_or_b32 v2, v3, s6, v2
	v_sub_u32_e32 v7, 0x3f1, v6
	v_or_b32_e32 v3, 0x1000, v2
	v_med3_i32 v7, v7, 0, 13
	v_lshrrev_b32_e32 v8, v7, v3
	v_lshlrev_b32_e32 v7, v7, v8
	v_cmp_ne_u32_e32 vcc, v7, v3
	v_cndmask_b32_e64 v3, 0, 1, vcc
	v_add_u32_e32 v6, 0xfffffc10, v6
	v_or_b32_e32 v3, v8, v3
	v_lshl_or_b32 v7, v6, 12, v2
	v_cmp_gt_i32_e32 vcc, 1, v6
	v_cndmask_b32_e32 v3, v7, v3, vcc
	v_and_b32_e32 v7, 7, v3
	v_cmp_lt_i32_e32 vcc, 5, v7
	v_cndmask_b32_e64 v8, 0, 1, vcc
	v_cmp_eq_u32_e32 vcc, 3, v7
	v_cndmask_b32_e64 v7, 0, 1, vcc
	v_or_b32_e32 v7, v7, v8
	v_lshrrev_b32_e32 v3, 2, v3
	v_add_u32_e32 v3, v3, v7
	v_mov_b32_e32 v7, 0x7c00
	v_cmp_gt_i32_e32 vcc, 31, v6
	v_cndmask_b32_e32 v3, v7, v3, vcc
	v_mov_b32_e32 v8, 0x7e00
	v_cmp_ne_u32_e32 vcc, 0, v2
	s_movk_i32 s6, 0x40f
	v_cndmask_b32_e32 v2, v7, v8, vcc
	v_cmp_eq_u32_e32 vcc, s6, v6
	v_cndmask_b32_e32 v2, v3, v2, vcc
	v_lshrrev_b32_e32 v3, 16, v1
	s_mov_b32 s6, 0x8000
	v_and_or_b32 v2, v3, s6, v2
	v_and_b32_e32 v2, 0xffff, v2
	global_store_dword v[4:5], v2, off
.LBB7_112:
	s_mov_b64 s[6:7], 0
.LBB7_113:
	s_andn2_b64 vcc, exec, s[6:7]
	s_cbranch_vccnz .LBB7_122
; %bb.114:
	s_cmp_lt_i32 s8, 6
	s_mov_b64 s[6:7], -1
	s_cbranch_scc1 .LBB7_120
; %bb.115:
	s_cmp_gt_i32 s8, 6
	s_cbranch_scc0 .LBB7_117
; %bb.116:
	global_store_dwordx2 v[4:5], v[0:1], off
	s_mov_b64 s[6:7], 0
.LBB7_117:
	s_andn2_b64 vcc, exec, s[6:7]
	s_cbranch_vccnz .LBB7_119
; %bb.118:
	v_cvt_f32_f64_e32 v2, v[0:1]
	global_store_dword v[4:5], v2, off
.LBB7_119:
	s_mov_b64 s[6:7], 0
.LBB7_120:
	s_andn2_b64 vcc, exec, s[6:7]
	s_cbranch_vccnz .LBB7_122
; %bb.121:
	s_movk_i32 s6, 0x1ff
	v_and_or_b32 v2, v1, s6, v0
	v_cmp_ne_u32_e32 vcc, 0, v2
	v_cndmask_b32_e64 v2, 0, 1, vcc
	v_lshrrev_b32_e32 v3, 8, v1
	s_movk_i32 s6, 0xffe
	v_bfe_u32 v6, v1, 20, 11
	v_and_or_b32 v2, v3, s6, v2
	v_sub_u32_e32 v7, 0x3f1, v6
	v_or_b32_e32 v3, 0x1000, v2
	v_med3_i32 v7, v7, 0, 13
	v_lshrrev_b32_e32 v8, v7, v3
	v_lshlrev_b32_e32 v7, v7, v8
	v_cmp_ne_u32_e32 vcc, v7, v3
	v_cndmask_b32_e64 v3, 0, 1, vcc
	v_add_u32_e32 v6, 0xfffffc10, v6
	v_or_b32_e32 v3, v8, v3
	v_lshl_or_b32 v7, v6, 12, v2
	v_cmp_gt_i32_e32 vcc, 1, v6
	v_cndmask_b32_e32 v3, v7, v3, vcc
	v_and_b32_e32 v7, 7, v3
	v_cmp_lt_i32_e32 vcc, 5, v7
	v_cndmask_b32_e64 v8, 0, 1, vcc
	v_cmp_eq_u32_e32 vcc, 3, v7
	v_cndmask_b32_e64 v7, 0, 1, vcc
	v_or_b32_e32 v7, v7, v8
	v_lshrrev_b32_e32 v3, 2, v3
	v_add_u32_e32 v3, v3, v7
	v_mov_b32_e32 v7, 0x7c00
	v_cmp_gt_i32_e32 vcc, 31, v6
	v_cndmask_b32_e32 v3, v7, v3, vcc
	v_mov_b32_e32 v8, 0x7e00
	v_cmp_ne_u32_e32 vcc, 0, v2
	s_movk_i32 s6, 0x40f
	v_cndmask_b32_e32 v2, v7, v8, vcc
	v_cmp_eq_u32_e32 vcc, s6, v6
	v_cndmask_b32_e32 v2, v3, v2, vcc
	v_lshrrev_b32_e32 v3, 16, v1
	s_mov_b32 s6, 0x8000
	v_and_or_b32 v2, v3, s6, v2
	global_store_short v[4:5], v2, off
.LBB7_122:
	s_mov_b64 s[6:7], 0
.LBB7_123:
	s_andn2_b64 vcc, exec, s[6:7]
	s_cbranch_vccnz .LBB7_139
; %bb.124:
	s_cmp_lt_i32 s8, 2
	s_mov_b64 s[6:7], -1
	s_cbranch_scc1 .LBB7_134
; %bb.125:
	s_cmp_lt_i32 s8, 3
	s_cbranch_scc1 .LBB7_131
; %bb.126:
	s_cmp_gt_i32 s8, 3
	s_cbranch_scc0 .LBB7_128
; %bb.127:
	v_trunc_f64_e32 v[2:3], v[0:1]
	s_movk_i32 s6, 0xffe0
	v_ldexp_f64 v[6:7], v[2:3], s6
	s_mov_b32 s6, 0
	s_mov_b32 s7, 0xc1f00000
	v_floor_f64_e32 v[6:7], v[6:7]
	v_fma_f64 v[2:3], v[6:7], s[6:7], v[2:3]
	v_cvt_i32_f64_e32 v7, v[6:7]
	s_mov_b64 s[6:7], 0
	v_cvt_u32_f64_e32 v6, v[2:3]
	global_store_dwordx2 v[4:5], v[6:7], off
.LBB7_128:
	s_andn2_b64 vcc, exec, s[6:7]
	s_cbranch_vccnz .LBB7_130
; %bb.129:
	v_cvt_i32_f64_e32 v2, v[0:1]
	global_store_dword v[4:5], v2, off
.LBB7_130:
	s_mov_b64 s[6:7], 0
.LBB7_131:
	s_andn2_b64 vcc, exec, s[6:7]
	s_cbranch_vccnz .LBB7_133
; %bb.132:
	v_cvt_i32_f64_e32 v2, v[0:1]
	global_store_short v[4:5], v2, off
.LBB7_133:
	s_mov_b64 s[6:7], 0
.LBB7_134:
	s_andn2_b64 vcc, exec, s[6:7]
	s_cbranch_vccnz .LBB7_139
; %bb.135:
	s_cmp_gt_i32 s8, 0
	s_mov_b64 s[6:7], -1
	s_cbranch_scc0 .LBB7_137
; %bb.136:
	v_cvt_i32_f64_e32 v2, v[0:1]
	s_mov_b64 s[6:7], 0
	global_store_byte v[4:5], v2, off
.LBB7_137:
	s_andn2_b64 vcc, exec, s[6:7]
	s_cbranch_vccnz .LBB7_139
; %bb.138:
	v_trunc_f64_e32 v[0:1], v[0:1]
	s_movk_i32 s6, 0xffe0
	v_ldexp_f64 v[2:3], v[0:1], s6
	s_mov_b32 s6, 0
	s_mov_b32 s7, 0xc1f00000
	v_floor_f64_e32 v[2:3], v[2:3]
	v_fma_f64 v[0:1], v[2:3], s[6:7], v[0:1]
	v_cvt_u32_f64_e32 v0, v[0:1]
	global_store_byte v[4:5], v0, off
.LBB7_139:
	s_branch .LBB7_21
.LBB7_140:
	s_mov_b64 s[6:7], 0
                                        ; implicit-def: $vgpr44
	s_branch .LBB7_250
.LBB7_141:
	s_mov_b64 s[50:51], -1
                                        ; implicit-def: $vgpr0_vgpr1
.LBB7_142:
	s_mov_b64 s[6:7], 0
.LBB7_143:
	s_and_b64 vcc, exec, s[6:7]
	s_cbranch_vccz .LBB7_147
; %bb.144:
	s_cmp_eq_u32 s10, 29
	s_cbranch_scc0 .LBB7_146
; %bb.145:
	global_load_dwordx2 v[0:1], v[2:3], off
	s_mov_b64 s[4:5], -1
	s_mov_b64 s[50:51], 0
	s_mov_b64 s[6:7], 0
	s_waitcnt vmcnt(0)
	v_cvt_f64_u32_e32 v[4:5], v1
	v_cvt_f64_u32_e32 v[0:1], v0
	v_ldexp_f64 v[4:5], v[4:5], 32
	v_add_f64 v[0:1], v[4:5], v[0:1]
	s_branch .LBB7_148
.LBB7_146:
	s_mov_b64 s[50:51], -1
                                        ; implicit-def: $vgpr0_vgpr1
.LBB7_147:
	s_mov_b64 s[6:7], 0
.LBB7_148:
	s_and_b64 vcc, exec, s[6:7]
	s_cbranch_vccz .LBB7_168
; %bb.149:
	s_cmp_lt_i32 s10, 27
	s_cbranch_scc1 .LBB7_152
; %bb.150:
	s_cmp_gt_i32 s10, 27
	s_cbranch_scc0 .LBB7_153
; %bb.151:
	global_load_dword v0, v[2:3], off
	s_mov_b64 s[4:5], 0
	s_waitcnt vmcnt(0)
	v_cvt_f64_u32_e32 v[0:1], v0
	s_branch .LBB7_154
.LBB7_152:
	s_mov_b64 s[4:5], -1
                                        ; implicit-def: $vgpr0_vgpr1
	s_branch .LBB7_157
.LBB7_153:
	s_mov_b64 s[4:5], -1
                                        ; implicit-def: $vgpr0_vgpr1
.LBB7_154:
	s_andn2_b64 vcc, exec, s[4:5]
	s_cbranch_vccnz .LBB7_156
; %bb.155:
	global_load_ushort v0, v[2:3], off
	s_waitcnt vmcnt(0)
	v_cvt_f64_u32_e32 v[0:1], v0
.LBB7_156:
	s_mov_b64 s[4:5], 0
.LBB7_157:
	s_andn2_b64 vcc, exec, s[4:5]
	s_cbranch_vccnz .LBB7_167
; %bb.158:
	global_load_ubyte v4, v[2:3], off
	s_movk_i32 s4, 0x7f
	s_waitcnt vmcnt(0)
	v_cmp_lt_i16_e32 vcc, s4, v4
	s_mov_b64 s[4:5], 0
	s_and_saveexec_b64 s[6:7], vcc
	s_xor_b64 s[6:7], exec, s[6:7]
	s_cbranch_execz .LBB7_162
; %bb.159:
	s_movk_i32 s4, 0x80
	v_cmp_eq_u16_e32 vcc, s4, v4
	s_mov_b64 s[4:5], -1
	s_and_saveexec_b64 s[8:9], vcc
; %bb.160:
	s_xor_b64 s[4:5], exec, -1
; %bb.161:
	s_or_b64 exec, exec, s[8:9]
	s_and_b64 s[4:5], s[4:5], exec
.LBB7_162:
	s_or_saveexec_b64 s[6:7], s[6:7]
	v_bfrev_b32_e32 v0, 4
	v_mov_b32_e32 v1, 0x7ff80000
	s_xor_b64 exec, exec, s[6:7]
; %bb.163:
	v_cmp_ne_u16_e32 vcc, 0, v4
	v_mov_b32_e32 v0, 0
	s_andn2_b64 s[4:5], s[4:5], exec
	s_and_b64 s[8:9], vcc, exec
	v_mov_b32_e32 v1, 0
	s_or_b64 s[4:5], s[4:5], s[8:9]
; %bb.164:
	s_or_b64 exec, exec, s[6:7]
	s_and_saveexec_b64 s[6:7], s[4:5]
	s_cbranch_execz .LBB7_166
; %bb.165:
	v_and_b32_e32 v1, 0xffff, v4
	v_lshlrev_b32_e32 v0, 24, v4
	v_and_b32_e32 v4, 7, v1
	v_ffbh_u32_e32 v6, v4
	v_min_u32_e32 v6, 32, v6
	v_subrev_u32_e32 v7, 28, v6
	v_bfe_u32 v5, v1, 3, 4
	v_lshlrev_b32_e32 v1, v7, v1
	v_sub_u32_e32 v6, 29, v6
	v_and_b32_e32 v1, 7, v1
	v_cmp_eq_u32_e32 vcc, 0, v5
	v_cndmask_b32_e32 v5, v5, v6, vcc
	v_cndmask_b32_e32 v1, v4, v1, vcc
	v_mov_b32_e32 v4, 0x3b800000
	v_lshlrev_b32_e32 v1, 20, v1
	v_and_b32_e32 v0, 0x80000000, v0
	v_lshl_add_u32 v4, v5, 23, v4
	v_or3_b32 v0, v0, v4, v1
	v_cvt_f64_f32_e32 v[0:1], v0
.LBB7_166:
	s_or_b64 exec, exec, s[6:7]
.LBB7_167:
	s_mov_b64 s[4:5], -1
.LBB7_168:
	s_branch .LBB7_201
.LBB7_169:
	s_cmp_gt_i32 s10, 22
	s_cbranch_scc0 .LBB7_181
; %bb.170:
	s_cmp_lt_i32 s10, 24
	s_cbranch_scc1 .LBB7_182
; %bb.171:
	s_cmp_gt_i32 s10, 24
	s_cbranch_scc0 .LBB7_183
; %bb.172:
	global_load_ubyte v4, v[2:3], off
	s_movk_i32 s4, 0x7f
	s_waitcnt vmcnt(0)
	v_cmp_lt_i16_e32 vcc, s4, v4
	s_mov_b64 s[4:5], 0
	s_and_saveexec_b64 s[6:7], vcc
	s_xor_b64 s[6:7], exec, s[6:7]
	s_cbranch_execz .LBB7_176
; %bb.173:
	s_movk_i32 s4, 0x80
	v_cmp_eq_u16_e32 vcc, s4, v4
	s_mov_b64 s[4:5], -1
	s_and_saveexec_b64 s[8:9], vcc
; %bb.174:
	s_xor_b64 s[4:5], exec, -1
; %bb.175:
	s_or_b64 exec, exec, s[8:9]
	s_and_b64 s[4:5], s[4:5], exec
.LBB7_176:
	s_or_saveexec_b64 s[6:7], s[6:7]
	v_bfrev_b32_e32 v0, 4
	v_mov_b32_e32 v1, 0x7ff80000
	s_xor_b64 exec, exec, s[6:7]
; %bb.177:
	v_cmp_ne_u16_e32 vcc, 0, v4
	v_mov_b32_e32 v0, 0
	s_andn2_b64 s[4:5], s[4:5], exec
	s_and_b64 s[8:9], vcc, exec
	v_mov_b32_e32 v1, 0
	s_or_b64 s[4:5], s[4:5], s[8:9]
; %bb.178:
	s_or_b64 exec, exec, s[6:7]
	s_and_saveexec_b64 s[6:7], s[4:5]
	s_cbranch_execz .LBB7_180
; %bb.179:
	v_and_b32_e32 v1, 0xffff, v4
	v_lshlrev_b32_e32 v0, 24, v4
	v_and_b32_e32 v4, 3, v1
	v_ffbh_u32_e32 v6, v4
	v_min_u32_e32 v6, 32, v6
	v_subrev_u32_e32 v7, 29, v6
	v_bfe_u32 v5, v1, 2, 5
	v_lshlrev_b32_e32 v1, v7, v1
	v_sub_u32_e32 v6, 30, v6
	v_and_b32_e32 v1, 3, v1
	v_cmp_eq_u32_e32 vcc, 0, v5
	v_cndmask_b32_e32 v5, v5, v6, vcc
	v_cndmask_b32_e32 v1, v4, v1, vcc
	v_mov_b32_e32 v4, 0x37800000
	v_lshlrev_b32_e32 v1, 21, v1
	v_and_b32_e32 v0, 0x80000000, v0
	v_lshl_add_u32 v4, v5, 23, v4
	v_or3_b32 v0, v0, v4, v1
	v_cvt_f64_f32_e32 v[0:1], v0
.LBB7_180:
	s_or_b64 exec, exec, s[6:7]
	s_mov_b64 s[4:5], 0
	s_branch .LBB7_184
.LBB7_181:
	s_mov_b64 s[6:7], -1
                                        ; implicit-def: $vgpr0_vgpr1
	s_branch .LBB7_190
.LBB7_182:
	s_mov_b64 s[4:5], -1
                                        ; implicit-def: $vgpr0_vgpr1
	s_branch .LBB7_187
.LBB7_183:
	s_mov_b64 s[4:5], -1
                                        ; implicit-def: $vgpr0_vgpr1
.LBB7_184:
	s_and_b64 vcc, exec, s[4:5]
	s_cbranch_vccz .LBB7_186
; %bb.185:
	global_load_ubyte v0, v[2:3], off
	s_mov_b32 s4, 0x7f800000
	s_waitcnt vmcnt(0)
	v_lshlrev_b32_e32 v0, 24, v0
	v_and_b32_e32 v1, 0x7f000000, v0
	v_ffbh_u32_e32 v4, v1
	v_min_u32_e32 v4, 32, v4
	v_sub_u32_e64 v4, v4, 4 clamp
	v_lshlrev_b32_e32 v6, v4, v1
	v_lshlrev_b32_e32 v4, 23, v4
	v_lshrrev_b32_e32 v6, 4, v6
	v_add_u32_e32 v5, 0x1000000, v1
	v_sub_u32_e32 v4, v6, v4
	v_ashrrev_i32_e32 v5, 8, v5
	v_add_u32_e32 v4, 0x3c000000, v4
	v_and_or_b32 v4, v5, s4, v4
	v_cmp_ne_u32_e32 vcc, 0, v1
	v_cndmask_b32_e32 v1, 0, v4, vcc
	s_brev_b32 s4, 1
	v_and_or_b32 v0, v0, s4, v1
	v_cvt_f64_f32_e32 v[0:1], v0
.LBB7_186:
	s_mov_b64 s[4:5], 0
.LBB7_187:
	s_andn2_b64 vcc, exec, s[4:5]
	s_cbranch_vccnz .LBB7_189
; %bb.188:
	global_load_ubyte v0, v[2:3], off
	s_movk_i32 s4, 0x7f00
	s_brev_b32 s5, 16
	s_waitcnt vmcnt(0)
	v_lshlrev_b16_e32 v1, 8, v0
	v_lshlrev_b32_e32 v0, 25, v0
	v_lshrrev_b32_e32 v4, 4, v0
	v_and_or_b32 v5, v1, s4, 0.5
	v_or_b32_e32 v4, 0x70000000, v4
	v_add_f32_e32 v5, -0.5, v5
	v_mul_f32_e32 v4, 0x7800000, v4
	v_cmp_gt_u32_e32 vcc, s5, v0
	v_bfe_i32 v1, v1, 0, 16
	v_cndmask_b32_e32 v0, v4, v5, vcc
	s_brev_b32 s4, 1
	v_and_or_b32 v0, v1, s4, v0
	v_cvt_f64_f32_e32 v[0:1], v0
.LBB7_189:
	s_mov_b64 s[6:7], 0
	s_mov_b64 s[4:5], -1
.LBB7_190:
	s_andn2_b64 vcc, exec, s[6:7]
	s_cbranch_vccnz .LBB7_201
; %bb.191:
	s_cmp_gt_i32 s10, 14
	s_cbranch_scc0 .LBB7_194
; %bb.192:
	s_cmp_eq_u32 s10, 15
	s_cbranch_scc0 .LBB7_195
; %bb.193:
	global_load_ushort v0, v[2:3], off
	s_mov_b64 s[4:5], -1
	s_mov_b64 s[50:51], 0
	s_waitcnt vmcnt(0)
	v_lshlrev_b32_e32 v0, 16, v0
	v_cvt_f64_f32_e32 v[0:1], v0
	s_branch .LBB7_196
.LBB7_194:
	s_mov_b64 s[6:7], -1
                                        ; implicit-def: $vgpr0_vgpr1
	s_branch .LBB7_197
.LBB7_195:
	s_mov_b64 s[50:51], -1
                                        ; implicit-def: $vgpr0_vgpr1
.LBB7_196:
	s_mov_b64 s[6:7], 0
.LBB7_197:
	s_and_b64 vcc, exec, s[6:7]
	s_cbranch_vccz .LBB7_201
; %bb.198:
	s_cmp_eq_u32 s10, 11
	s_cbranch_scc0 .LBB7_200
; %bb.199:
	global_load_ubyte v1, v[2:3], off
	v_mov_b32_e32 v4, 0x3ff00000
	v_mov_b32_e32 v0, 0
	s_mov_b64 s[4:5], -1
	s_mov_b64 s[50:51], 0
	s_waitcnt vmcnt(0)
	v_cmp_ne_u16_e32 vcc, 0, v1
	v_cndmask_b32_e32 v1, 0, v4, vcc
	s_branch .LBB7_201
.LBB7_200:
	s_mov_b64 s[50:51], -1
                                        ; implicit-def: $vgpr0_vgpr1
.LBB7_201:
	s_branch .LBB7_10
.LBB7_202:
	s_cmp_lt_i32 s10, 5
	s_cbranch_scc1 .LBB7_207
; %bb.203:
	s_cmp_lt_i32 s10, 8
	s_cbranch_scc1 .LBB7_208
; %bb.204:
	;; [unrolled: 3-line block ×3, first 2 shown]
	s_cmp_gt_i32 s10, 9
	s_cbranch_scc0 .LBB7_210
; %bb.206:
	global_load_dwordx2 v[0:1], v[2:3], off
	s_mov_b64 s[4:5], 0
	s_branch .LBB7_211
.LBB7_207:
                                        ; implicit-def: $vgpr0_vgpr1
	s_branch .LBB7_229
.LBB7_208:
	s_mov_b64 s[4:5], -1
                                        ; implicit-def: $vgpr0_vgpr1
	s_branch .LBB7_217
.LBB7_209:
	s_mov_b64 s[4:5], -1
                                        ; implicit-def: $vgpr0_vgpr1
	s_branch .LBB7_214
.LBB7_210:
	s_mov_b64 s[4:5], -1
                                        ; implicit-def: $vgpr0_vgpr1
.LBB7_211:
	s_andn2_b64 vcc, exec, s[4:5]
	s_cbranch_vccnz .LBB7_213
; %bb.212:
	global_load_dword v0, v[2:3], off
	s_waitcnt vmcnt(0)
	v_cvt_f64_f32_e32 v[0:1], v0
.LBB7_213:
	s_mov_b64 s[4:5], 0
.LBB7_214:
	s_andn2_b64 vcc, exec, s[4:5]
	s_cbranch_vccnz .LBB7_216
; %bb.215:
	global_load_dword v0, v[2:3], off
	s_waitcnt vmcnt(0)
	v_cvt_f32_f16_e32 v0, v0
	v_cvt_f64_f32_e32 v[0:1], v0
.LBB7_216:
	s_mov_b64 s[4:5], 0
.LBB7_217:
	s_andn2_b64 vcc, exec, s[4:5]
	s_cbranch_vccnz .LBB7_228
; %bb.218:
	s_cmp_lt_i32 s10, 6
	s_cbranch_scc1 .LBB7_221
; %bb.219:
	s_cmp_gt_i32 s10, 6
	s_cbranch_scc0 .LBB7_222
; %bb.220:
	global_load_dwordx2 v[0:1], v[2:3], off
	s_mov_b64 s[4:5], 0
	s_branch .LBB7_223
.LBB7_221:
	s_mov_b64 s[4:5], -1
                                        ; implicit-def: $vgpr0_vgpr1
	s_branch .LBB7_226
.LBB7_222:
	s_mov_b64 s[4:5], -1
                                        ; implicit-def: $vgpr0_vgpr1
.LBB7_223:
	s_andn2_b64 vcc, exec, s[4:5]
	s_cbranch_vccnz .LBB7_225
; %bb.224:
	global_load_dword v0, v[2:3], off
	s_waitcnt vmcnt(0)
	v_cvt_f64_f32_e32 v[0:1], v0
.LBB7_225:
	s_mov_b64 s[4:5], 0
.LBB7_226:
	s_andn2_b64 vcc, exec, s[4:5]
	s_cbranch_vccnz .LBB7_228
; %bb.227:
	global_load_ushort v0, v[2:3], off
	s_waitcnt vmcnt(0)
	v_cvt_f32_f16_e32 v0, v0
	v_cvt_f64_f32_e32 v[0:1], v0
.LBB7_228:
	s_cbranch_execnz .LBB7_248
.LBB7_229:
	s_cmp_lt_i32 s10, 2
	s_cbranch_scc1 .LBB7_233
; %bb.230:
	s_cmp_lt_i32 s10, 3
	s_cbranch_scc1 .LBB7_234
; %bb.231:
	s_cmp_gt_i32 s10, 3
	s_cbranch_scc0 .LBB7_235
; %bb.232:
	global_load_dwordx2 v[0:1], v[2:3], off
	s_mov_b64 s[4:5], 0
	s_waitcnt vmcnt(0)
	v_cvt_f64_i32_e32 v[4:5], v1
	v_cvt_f64_u32_e32 v[0:1], v0
	v_ldexp_f64 v[4:5], v[4:5], 32
	v_add_f64 v[0:1], v[4:5], v[0:1]
	s_branch .LBB7_236
.LBB7_233:
	s_mov_b64 s[4:5], -1
                                        ; implicit-def: $vgpr0_vgpr1
	s_branch .LBB7_242
.LBB7_234:
	s_mov_b64 s[4:5], -1
                                        ; implicit-def: $vgpr0_vgpr1
	s_branch .LBB7_239
.LBB7_235:
	s_mov_b64 s[4:5], -1
                                        ; implicit-def: $vgpr0_vgpr1
.LBB7_236:
	s_andn2_b64 vcc, exec, s[4:5]
	s_cbranch_vccnz .LBB7_238
; %bb.237:
	global_load_dword v0, v[2:3], off
	s_waitcnt vmcnt(0)
	v_cvt_f64_i32_e32 v[0:1], v0
.LBB7_238:
	s_mov_b64 s[4:5], 0
.LBB7_239:
	s_andn2_b64 vcc, exec, s[4:5]
	s_cbranch_vccnz .LBB7_241
; %bb.240:
	global_load_sshort v0, v[2:3], off
	s_waitcnt vmcnt(0)
	v_cvt_f64_i32_e32 v[0:1], v0
.LBB7_241:
	s_mov_b64 s[4:5], 0
.LBB7_242:
	s_andn2_b64 vcc, exec, s[4:5]
	s_cbranch_vccnz .LBB7_248
; %bb.243:
	s_cmp_gt_i32 s10, 0
	s_cbranch_scc0 .LBB7_245
; %bb.244:
	global_load_sbyte v0, v[2:3], off
	s_mov_b64 s[4:5], 0
	s_waitcnt vmcnt(0)
	v_cvt_f64_i32_e32 v[0:1], v0
	s_branch .LBB7_246
.LBB7_245:
	s_mov_b64 s[4:5], -1
                                        ; implicit-def: $vgpr0_vgpr1
.LBB7_246:
	s_andn2_b64 vcc, exec, s[4:5]
	s_cbranch_vccnz .LBB7_248
; %bb.247:
	global_load_ubyte v0, v[2:3], off
	s_waitcnt vmcnt(0)
	v_cvt_f64_u32_e32 v[0:1], v0
.LBB7_248:
	s_branch .LBB7_11
.LBB7_249:
	s_mov_b64 s[4:5], 0
                                        ; implicit-def: $vgpr44
	s_mov_b64 s[6:7], 0
.LBB7_250:
	s_and_b64 s[48:49], s[4:5], exec
	s_and_b64 s[50:51], s[50:51], exec
	s_orn2_b64 s[6:7], s[6:7], exec
.LBB7_251:
	s_or_b64 exec, exec, s[52:53]
	s_mov_b64 s[8:9], 0
	s_mov_b64 s[4:5], 0
                                        ; implicit-def: $vgpr0_vgpr1
                                        ; implicit-def: $vgpr2_vgpr3
	s_and_saveexec_b64 s[52:53], s[6:7]
	s_cbranch_execz .LBB7_260
; %bb.252:
	v_cmp_gt_i32_e32 vcc, s65, v44
	s_mov_b64 s[4:5], -1
	s_mov_b64 s[54:55], s[50:51]
	s_mov_b64 s[56:57], s[48:49]
	s_and_saveexec_b64 s[58:59], vcc
	s_cbranch_execz .LBB7_512
; %bb.253:
	s_waitcnt vmcnt(0)
	v_mul_lo_u32 v0, v44, s35
	v_mov_b32_e32 v1, s39
	s_and_b32 s10, 0xffff, s64
	s_cmp_lt_i32 s10, 11
	v_ashrrev_i32_e32 v3, 31, v0
	v_add_co_u32_e32 v2, vcc, s38, v0
	v_addc_co_u32_e32 v3, vcc, v1, v3, vcc
	s_cbranch_scc1 .LBB7_263
; %bb.254:
	s_cmp_gt_i32 s10, 25
	s_cbranch_scc0 .LBB7_272
; %bb.255:
	s_cmp_gt_i32 s10, 28
	s_cbranch_scc0 .LBB7_274
	;; [unrolled: 3-line block ×4, first 2 shown]
; %bb.258:
	s_cmp_eq_u32 s10, 46
	s_mov_b64 s[6:7], 0
	s_cbranch_scc0 .LBB7_284
; %bb.259:
	global_load_dword v0, v[2:3], off
	s_mov_b64 s[54:55], 0
	s_waitcnt vmcnt(0)
	v_lshlrev_b32_e32 v0, 16, v0
	v_cvt_f64_f32_e32 v[0:1], v0
	s_branch .LBB7_285
.LBB7_260:
	s_or_b64 exec, exec, s[52:53]
	s_mov_b64 s[52:53], 0
	s_and_saveexec_b64 s[6:7], s[50:51]
	s_cbranch_execnz .LBB7_858
.LBB7_261:
	s_or_b64 exec, exec, s[6:7]
	s_and_saveexec_b64 s[6:7], s[56:57]
	s_xor_b64 s[6:7], exec, s[6:7]
	s_cbranch_execz .LBB7_859
.LBB7_262:
	s_waitcnt vmcnt(0)
	global_load_ubyte v3, v[0:1], off
	v_mov_b32_e32 v4, 0x3ff00000
	v_mov_b32_e32 v2, 0
	s_or_b64 s[4:5], s[4:5], exec
	s_waitcnt vmcnt(0)
	v_cmp_ne_u16_e32 vcc, 0, v3
	v_cndmask_b32_e32 v3, 0, v4, vcc
	s_or_b64 exec, exec, s[6:7]
	s_and_saveexec_b64 s[6:7], s[8:9]
	s_cbranch_execz .LBB7_905
	s_branch .LBB7_860
.LBB7_263:
	s_mov_b64 s[4:5], 0
                                        ; implicit-def: $vgpr0_vgpr1
	s_mov_b64 s[54:55], s[50:51]
	s_cbranch_execnz .LBB7_462
.LBB7_264:
	s_andn2_b64 vcc, exec, s[4:5]
	s_cbranch_vccnz .LBB7_510
.LBB7_265:
	s_getpc_b64 s[4:5]
	s_add_u32 s4, s4, _ZZZZN2at6native12_GLOBAL__N_121bessel_j1_kernel_cudaERNS_18TensorIteratorBaseEENKUlvE_clEvENKUlvE_clEvENKUldE_clEd@rel32@lo+4
	s_addc_u32 s5, s5, _ZZZZN2at6native12_GLOBAL__N_121bessel_j1_kernel_cudaERNS_18TensorIteratorBaseEENKUlvE_clEvENKUlvE_clEvENKUldE_clEd@rel32@hi+12
	s_swappc_b64 s[30:31], s[4:5]
	v_mul_lo_u32 v2, v44, s34
	v_mov_b32_e32 v5, s37
	s_and_b32 s12, s33, 0xff
	s_cmp_lt_i32 s12, 11
	v_ashrrev_i32_e32 v3, 31, v2
	v_add_co_u32_e32 v4, vcc, s36, v2
	v_addc_co_u32_e32 v5, vcc, v5, v3, vcc
	s_cbranch_scc1 .LBB7_273
; %bb.266:
	s_and_b32 s13, 0xffff, s12
	s_cmp_gt_i32 s13, 25
	s_cbranch_scc0 .LBB7_275
; %bb.267:
	s_cmp_gt_i32 s13, 28
	s_cbranch_scc0 .LBB7_277
; %bb.268:
	;; [unrolled: 3-line block ×4, first 2 shown]
	s_mov_b64 s[8:9], 0
	s_mov_b64 s[4:5], -1
	s_cmp_eq_u32 s13, 46
	s_mov_b64 s[6:7], 0
	s_cbranch_scc0 .LBB7_289
; %bb.271:
	v_cvt_f32_f64_e32 v2, v[0:1]
	s_movk_i32 s4, 0x7fff
	v_mov_b32_e32 v3, 0x7fc0
	s_mov_b64 s[6:7], -1
	v_bfe_u32 v6, v2, 16, 1
	v_cmp_o_f32_e32 vcc, v2, v2
	v_add3_u32 v2, v2, v6, s4
	v_cndmask_b32_sdwa v2, v3, v2, vcc dst_sel:DWORD dst_unused:UNUSED_PAD src0_sel:DWORD src1_sel:WORD_1
	global_store_dword v[4:5], v2, off
	s_mov_b64 s[4:5], 0
	s_branch .LBB7_289
.LBB7_272:
	s_mov_b64 s[6:7], -1
	s_mov_b64 s[4:5], 0
	s_mov_b64 s[54:55], s[50:51]
                                        ; implicit-def: $vgpr0_vgpr1
	s_branch .LBB7_428
.LBB7_273:
	s_mov_b64 s[8:9], -1
	s_mov_b64 s[6:7], 0
	s_mov_b64 s[4:5], s[48:49]
	s_branch .LBB7_358
.LBB7_274:
	s_mov_b64 s[6:7], -1
	s_mov_b64 s[4:5], 0
	s_mov_b64 s[54:55], s[50:51]
                                        ; implicit-def: $vgpr0_vgpr1
	s_branch .LBB7_407
.LBB7_275:
	s_mov_b64 s[8:9], -1
	s_mov_b64 s[6:7], 0
	s_mov_b64 s[4:5], s[48:49]
	s_branch .LBB7_316
.LBB7_276:
	s_mov_b64 s[6:7], -1
	s_mov_b64 s[4:5], 0
	s_mov_b64 s[54:55], s[50:51]
                                        ; implicit-def: $vgpr0_vgpr1
	s_branch .LBB7_402
.LBB7_277:
	s_mov_b64 s[8:9], -1
	s_mov_b64 s[6:7], 0
	s_mov_b64 s[4:5], s[48:49]
	s_branch .LBB7_299
.LBB7_278:
	s_andn2_saveexec_b64 s[10:11], s[10:11]
	s_cbranch_execz .LBB7_54
.LBB7_279:
	s_mov_b32 s14, 0x46000000
	v_add_f32_e64 v3, |v2|, s14
	v_and_b32_e32 v3, 0xff, v3
	v_cmp_ne_u32_e32 vcc, 0, v3
	s_andn2_b64 s[8:9], s[8:9], exec
	s_and_b64 s[14:15], vcc, exec
	s_or_b64 s[8:9], s[8:9], s[14:15]
	s_or_b64 exec, exec, s[10:11]
	v_mov_b32_e32 v6, 0
	s_and_saveexec_b64 s[10:11], s[8:9]
	s_cbranch_execnz .LBB7_55
	s_branch .LBB7_56
.LBB7_280:
	s_mov_b64 s[6:7], -1
	s_mov_b64 s[4:5], 0
	s_mov_b64 s[54:55], s[50:51]
                                        ; implicit-def: $vgpr0_vgpr1
	s_branch .LBB7_285
.LBB7_281:
	s_mov_b64 s[8:9], -1
	s_mov_b64 s[6:7], 0
	s_mov_b64 s[4:5], s[48:49]
	s_branch .LBB7_295
.LBB7_282:
	s_andn2_saveexec_b64 s[10:11], s[10:11]
	s_cbranch_execz .LBB7_67
.LBB7_283:
	s_mov_b32 s14, 0x42800000
	v_add_f32_e64 v3, |v2|, s14
	v_and_b32_e32 v3, 0xff, v3
	v_cmp_ne_u32_e32 vcc, 0, v3
	s_andn2_b64 s[8:9], s[8:9], exec
	s_and_b64 s[14:15], vcc, exec
	s_or_b64 s[8:9], s[8:9], s[14:15]
	s_or_b64 exec, exec, s[10:11]
	v_mov_b32_e32 v6, 0
	s_and_saveexec_b64 s[10:11], s[8:9]
	s_cbranch_execnz .LBB7_68
	s_branch .LBB7_69
.LBB7_284:
	s_mov_b64 s[54:55], -1
                                        ; implicit-def: $vgpr0_vgpr1
	s_mov_b64 s[4:5], 0
.LBB7_285:
	s_and_b64 vcc, exec, s[6:7]
	s_cbranch_vccz .LBB7_401
; %bb.286:
	s_cmp_eq_u32 s10, 44
	s_cbranch_scc0 .LBB7_400
; %bb.287:
	global_load_ubyte v4, v[2:3], off
	s_movk_i32 s6, 0xff
	v_bfrev_b32_e32 v5, 4
	v_mov_b32_e32 v6, 0x7ff80000
	v_bfrev_b32_e32 v7, 28
	s_mov_b64 s[4:5], -1
	s_mov_b64 s[54:55], 0
	s_waitcnt vmcnt(0)
	v_lshlrev_b32_e32 v0, 23, v4
	v_cvt_f64_f32_e32 v[0:1], v0
	v_cmp_ne_u32_e32 vcc, s6, v4
	v_cndmask_b32_e32 v0, v5, v0, vcc
	v_cndmask_b32_e32 v1, v6, v1, vcc
	v_cmp_ne_u32_e32 vcc, 0, v4
	v_cndmask_b32_e32 v1, v7, v1, vcc
	v_cndmask_b32_e32 v0, 0, v0, vcc
	s_branch .LBB7_401
.LBB7_288:
	s_mov_b64 s[8:9], -1
	s_mov_b64 s[6:7], 0
	s_mov_b64 s[4:5], s[48:49]
.LBB7_289:
	s_and_b64 vcc, exec, s[8:9]
	s_cbranch_vccz .LBB7_294
; %bb.290:
	s_cmp_eq_u32 s13, 44
	s_mov_b64 s[4:5], -1
	s_cbranch_scc0 .LBB7_294
; %bb.291:
	v_cvt_f32_f64_e32 v2, v[0:1]
	s_movk_i32 s4, 0xff
	v_mov_b32_e32 v6, 0xff
	v_bfe_u32 v3, v2, 23, 8
	v_cmp_ne_u32_e32 vcc, s4, v3
	s_and_saveexec_b64 s[6:7], vcc
; %bb.292:
	s_mov_b32 s4, 0x3fffff
	v_lshrrev_b32_e32 v6, 23, v2
	v_and_b32_e32 v7, 0x400000, v2
	v_and_or_b32 v2, v2, s4, v3
	v_cmp_ne_u32_e32 vcc, 0, v7
	v_cmp_ne_u32_e64 s[4:5], 0, v2
	s_and_b64 s[4:5], vcc, s[4:5]
	v_cndmask_b32_e64 v2, 0, 1, s[4:5]
	v_add_u32_e32 v6, v6, v2
; %bb.293:
	s_or_b64 exec, exec, s[6:7]
	s_mov_b64 s[6:7], -1
	s_mov_b64 s[4:5], 0
	global_store_byte v[4:5], v6, off
.LBB7_294:
	s_mov_b64 s[8:9], 0
.LBB7_295:
	s_and_b64 vcc, exec, s[8:9]
	s_cbranch_vccz .LBB7_298
; %bb.296:
	s_cmp_eq_u32 s13, 29
	s_mov_b64 s[4:5], -1
	s_cbranch_scc0 .LBB7_298
; %bb.297:
	v_trunc_f64_e32 v[2:3], v[0:1]
	s_movk_i32 s4, 0xffe0
	s_mov_b64 s[6:7], -1
	s_mov_b64 s[8:9], 0
	v_ldexp_f64 v[6:7], v[2:3], s4
	s_mov_b32 s4, 0
	s_mov_b32 s5, 0xc1f00000
	v_floor_f64_e32 v[6:7], v[6:7]
	v_fma_f64 v[2:3], v[6:7], s[4:5], v[2:3]
	v_cvt_u32_f64_e32 v7, v[6:7]
	s_mov_b64 s[4:5], 0
	v_cvt_u32_f64_e32 v6, v[2:3]
	global_store_dwordx2 v[4:5], v[6:7], off
	s_branch .LBB7_299
.LBB7_298:
	s_mov_b64 s[8:9], 0
.LBB7_299:
	s_and_b64 vcc, exec, s[8:9]
	s_cbranch_vccz .LBB7_315
; %bb.300:
	s_cmp_lt_i32 s13, 27
	s_mov_b64 s[6:7], -1
	s_cbranch_scc1 .LBB7_306
; %bb.301:
	v_cvt_u32_f64_e32 v2, v[0:1]
	s_cmp_gt_i32 s13, 27
	s_cbranch_scc0 .LBB7_303
; %bb.302:
	s_mov_b64 s[6:7], 0
	global_store_dword v[4:5], v2, off
.LBB7_303:
	s_andn2_b64 vcc, exec, s[6:7]
	s_cbranch_vccnz .LBB7_305
; %bb.304:
	global_store_short v[4:5], v2, off
.LBB7_305:
	s_mov_b64 s[6:7], 0
.LBB7_306:
	s_andn2_b64 vcc, exec, s[6:7]
	s_cbranch_vccnz .LBB7_314
; %bb.307:
	v_cvt_f32_f64_e32 v2, v[0:1]
	s_mov_b32 s6, 0x43800000
	v_mov_b32_e32 v6, 0x80
	v_and_b32_e32 v3, 0x7fffffff, v2
	v_cmp_gt_u32_e32 vcc, s6, v3
	s_and_saveexec_b64 s[6:7], vcc
	s_cbranch_execz .LBB7_313
; %bb.308:
	s_mov_b32 s8, 0x3bffffff
	v_cmp_lt_u32_e32 vcc, s8, v3
	s_mov_b64 s[8:9], 0
                                        ; implicit-def: $vgpr3
	s_and_saveexec_b64 s[10:11], vcc
	s_xor_b64 s[10:11], exec, s[10:11]
	s_cbranch_execz .LBB7_525
; %bb.309:
	v_bfe_u32 v3, v2, 20, 1
	s_mov_b32 s14, 0x487ffff
	v_add3_u32 v3, v2, v3, s14
	s_mov_b64 s[8:9], exec
	v_lshrrev_b32_e32 v3, 20, v3
	s_andn2_saveexec_b64 s[10:11], s[10:11]
	s_cbranch_execnz .LBB7_526
.LBB7_310:
	s_or_b64 exec, exec, s[10:11]
	v_mov_b32_e32 v6, 0
	s_and_saveexec_b64 s[10:11], s[8:9]
.LBB7_311:
	v_lshrrev_b32_e32 v2, 24, v2
	s_movk_i32 s8, 0x80
	v_and_or_b32 v6, v2, s8, v3
.LBB7_312:
	s_or_b64 exec, exec, s[10:11]
.LBB7_313:
	s_or_b64 exec, exec, s[6:7]
	global_store_byte v[4:5], v6, off
.LBB7_314:
	s_mov_b64 s[6:7], -1
.LBB7_315:
	s_mov_b64 s[8:9], 0
.LBB7_316:
	s_and_b64 vcc, exec, s[8:9]
	s_cbranch_vccz .LBB7_357
; %bb.317:
	s_cmp_gt_i32 s13, 22
	s_mov_b64 s[8:9], -1
	s_cbranch_scc0 .LBB7_349
; %bb.318:
	s_cmp_lt_i32 s13, 24
	s_mov_b64 s[6:7], -1
	s_cbranch_scc1 .LBB7_338
; %bb.319:
	s_cmp_gt_i32 s13, 24
	s_cbranch_scc0 .LBB7_327
; %bb.320:
	v_cvt_f32_f64_e32 v2, v[0:1]
	s_mov_b32 s6, 0x47800000
	v_mov_b32_e32 v6, 0x80
	v_and_b32_e32 v3, 0x7fffffff, v2
	v_cmp_gt_u32_e32 vcc, s6, v3
	s_and_saveexec_b64 s[6:7], vcc
	s_cbranch_execz .LBB7_326
; %bb.321:
	s_mov_b32 s8, 0x37ffffff
	v_cmp_lt_u32_e32 vcc, s8, v3
	s_mov_b64 s[8:9], 0
                                        ; implicit-def: $vgpr3
	s_and_saveexec_b64 s[10:11], vcc
	s_xor_b64 s[10:11], exec, s[10:11]
	s_cbranch_execz .LBB7_528
; %bb.322:
	v_bfe_u32 v3, v2, 21, 1
	s_mov_b32 s14, 0x88fffff
	v_add3_u32 v3, v2, v3, s14
	s_mov_b64 s[8:9], exec
	v_lshrrev_b32_e32 v3, 21, v3
	s_andn2_saveexec_b64 s[10:11], s[10:11]
	s_cbranch_execnz .LBB7_529
.LBB7_323:
	s_or_b64 exec, exec, s[10:11]
	v_mov_b32_e32 v6, 0
	s_and_saveexec_b64 s[10:11], s[8:9]
.LBB7_324:
	v_lshrrev_b32_e32 v2, 24, v2
	s_movk_i32 s8, 0x80
	v_and_or_b32 v6, v2, s8, v3
.LBB7_325:
	s_or_b64 exec, exec, s[10:11]
.LBB7_326:
	s_or_b64 exec, exec, s[6:7]
	s_mov_b64 s[6:7], 0
	global_store_byte v[4:5], v6, off
.LBB7_327:
	s_and_b64 vcc, exec, s[6:7]
	s_cbranch_vccz .LBB7_337
; %bb.328:
	v_cvt_f32_f64_e32 v2, v[0:1]
	s_mov_b32 s6, 0x43f00000
                                        ; implicit-def: $vgpr3
	v_and_b32_e32 v6, 0x7fffffff, v2
	v_cmp_gt_u32_e32 vcc, s6, v6
	s_and_saveexec_b64 s[6:7], vcc
	s_xor_b64 s[6:7], exec, s[6:7]
	s_cbranch_execz .LBB7_334
; %bb.329:
	s_mov_b32 s8, 0x3c7fffff
	v_cmp_lt_u32_e32 vcc, s8, v6
                                        ; implicit-def: $vgpr3
	s_and_saveexec_b64 s[8:9], vcc
	s_xor_b64 s[8:9], exec, s[8:9]
; %bb.330:
	v_bfe_u32 v3, v2, 20, 1
	s_mov_b32 s10, 0x407ffff
	v_add3_u32 v3, v2, v3, s10
	v_lshrrev_b32_e32 v6, 20, v3
	v_and_b32_e32 v3, 0xff00000, v3
	s_mov_b32 s10, 0x7f00000
	v_mov_b32_e32 v7, 0x7e
	v_cmp_ne_u32_e32 vcc, s10, v3
	v_cndmask_b32_e32 v3, v7, v6, vcc
; %bb.331:
	s_andn2_saveexec_b64 s[8:9], s[8:9]
; %bb.332:
	s_mov_b32 s10, 0x46800000
	v_add_f32_e64 v3, |v2|, s10
; %bb.333:
	s_or_b64 exec, exec, s[8:9]
                                        ; implicit-def: $vgpr6
.LBB7_334:
	s_andn2_saveexec_b64 s[6:7], s[6:7]
; %bb.335:
	s_mov_b32 s8, 0x7f800000
	v_mov_b32_e32 v3, 0x7e
	v_mov_b32_e32 v7, 0x7f
	v_cmp_lt_u32_e32 vcc, s8, v6
	v_cndmask_b32_e32 v3, v3, v7, vcc
; %bb.336:
	s_or_b64 exec, exec, s[6:7]
	v_lshrrev_b32_e32 v2, 24, v2
	s_movk_i32 s6, 0x80
	v_and_or_b32 v2, v2, s6, v3
	global_store_byte v[4:5], v2, off
.LBB7_337:
	s_mov_b64 s[6:7], 0
.LBB7_338:
	s_andn2_b64 vcc, exec, s[6:7]
	s_cbranch_vccnz .LBB7_348
; %bb.339:
	v_cvt_f32_f64_e32 v2, v[0:1]
	s_mov_b32 s6, 0x47800000
                                        ; implicit-def: $vgpr3
	v_and_b32_e32 v6, 0x7fffffff, v2
	v_cmp_gt_u32_e32 vcc, s6, v6
	s_and_saveexec_b64 s[6:7], vcc
	s_xor_b64 s[6:7], exec, s[6:7]
	s_cbranch_execz .LBB7_345
; %bb.340:
	s_mov_b32 s8, 0x387fffff
	v_cmp_lt_u32_e32 vcc, s8, v6
                                        ; implicit-def: $vgpr3
	s_and_saveexec_b64 s[8:9], vcc
	s_xor_b64 s[8:9], exec, s[8:9]
; %bb.341:
	v_bfe_u32 v3, v2, 21, 1
	s_mov_b32 s10, 0x80fffff
	v_add3_u32 v3, v2, v3, s10
	v_lshrrev_b32_e32 v3, 21, v3
; %bb.342:
	s_andn2_saveexec_b64 s[8:9], s[8:9]
; %bb.343:
	s_mov_b32 s10, 0x43000000
	v_add_f32_e64 v3, |v2|, s10
; %bb.344:
	s_or_b64 exec, exec, s[8:9]
                                        ; implicit-def: $vgpr6
.LBB7_345:
	s_andn2_saveexec_b64 s[6:7], s[6:7]
; %bb.346:
	s_mov_b32 s8, 0x7f800000
	v_mov_b32_e32 v3, 0x7c
	v_mov_b32_e32 v7, 0x7f
	v_cmp_lt_u32_e32 vcc, s8, v6
	v_cndmask_b32_e32 v3, v3, v7, vcc
; %bb.347:
	s_or_b64 exec, exec, s[6:7]
	v_lshrrev_b32_e32 v2, 24, v2
	s_movk_i32 s6, 0x80
	v_and_or_b32 v2, v2, s6, v3
	global_store_byte v[4:5], v2, off
.LBB7_348:
	s_mov_b64 s[8:9], 0
	s_mov_b64 s[6:7], -1
.LBB7_349:
	s_andn2_b64 vcc, exec, s[8:9]
	s_cbranch_vccnz .LBB7_357
; %bb.350:
	s_cmp_gt_i32 s13, 14
	s_mov_b64 s[8:9], -1
	s_cbranch_scc0 .LBB7_354
; %bb.351:
	s_cmp_eq_u32 s13, 15
	s_mov_b64 s[4:5], -1
	s_cbranch_scc0 .LBB7_353
; %bb.352:
	v_cvt_f32_f64_e32 v2, v[0:1]
	s_movk_i32 s4, 0x7fff
	v_mov_b32_e32 v3, 0x7fc0
	s_mov_b64 s[6:7], -1
	v_bfe_u32 v6, v2, 16, 1
	v_cmp_o_f32_e32 vcc, v2, v2
	v_add3_u32 v2, v2, v6, s4
	v_cndmask_b32_sdwa v2, v3, v2, vcc dst_sel:DWORD dst_unused:UNUSED_PAD src0_sel:DWORD src1_sel:WORD_1
	global_store_short v[4:5], v2, off
	s_mov_b64 s[4:5], 0
.LBB7_353:
	s_mov_b64 s[8:9], 0
.LBB7_354:
	s_and_b64 vcc, exec, s[8:9]
	s_cbranch_vccz .LBB7_357
; %bb.355:
	s_cmp_eq_u32 s13, 11
	s_mov_b64 s[4:5], -1
	s_cbranch_scc0 .LBB7_357
; %bb.356:
	v_cmp_neq_f64_e32 vcc, 0, v[0:1]
	s_mov_b64 s[4:5], 0
	s_mov_b64 s[6:7], -1
	v_cndmask_b32_e64 v2, 0, 1, vcc
	global_store_byte v[4:5], v2, off
.LBB7_357:
	s_mov_b64 s[8:9], 0
.LBB7_358:
	s_and_b64 vcc, exec, s[8:9]
	s_cbranch_vccz .LBB7_397
; %bb.359:
	s_and_b32 s8, 0xffff, s12
	s_cmp_lt_i32 s8, 5
	s_mov_b64 s[6:7], -1
	s_cbranch_scc1 .LBB7_380
; %bb.360:
	s_cmp_lt_i32 s8, 8
	s_cbranch_scc1 .LBB7_370
; %bb.361:
	s_cmp_lt_i32 s8, 9
	s_cbranch_scc1 .LBB7_367
; %bb.362:
	s_cmp_gt_i32 s8, 9
	s_cbranch_scc0 .LBB7_364
; %bb.363:
	v_mov_b32_e32 v2, 0
	v_mov_b32_e32 v3, v2
	s_mov_b64 s[6:7], 0
	global_store_dwordx4 v[4:5], v[0:3], off
.LBB7_364:
	s_andn2_b64 vcc, exec, s[6:7]
	s_cbranch_vccnz .LBB7_366
; %bb.365:
	v_cvt_f32_f64_e32 v2, v[0:1]
	v_mov_b32_e32 v3, 0
	global_store_dwordx2 v[4:5], v[2:3], off
.LBB7_366:
	s_mov_b64 s[6:7], 0
.LBB7_367:
	s_andn2_b64 vcc, exec, s[6:7]
	s_cbranch_vccnz .LBB7_369
; %bb.368:
	s_movk_i32 s6, 0x1ff
	v_and_or_b32 v2, v1, s6, v0
	v_cmp_ne_u32_e32 vcc, 0, v2
	v_cndmask_b32_e64 v2, 0, 1, vcc
	v_lshrrev_b32_e32 v3, 8, v1
	s_movk_i32 s6, 0xffe
	v_bfe_u32 v6, v1, 20, 11
	v_and_or_b32 v2, v3, s6, v2
	v_sub_u32_e32 v7, 0x3f1, v6
	v_or_b32_e32 v3, 0x1000, v2
	v_med3_i32 v7, v7, 0, 13
	v_lshrrev_b32_e32 v8, v7, v3
	v_lshlrev_b32_e32 v7, v7, v8
	v_cmp_ne_u32_e32 vcc, v7, v3
	v_cndmask_b32_e64 v3, 0, 1, vcc
	v_add_u32_e32 v6, 0xfffffc10, v6
	v_or_b32_e32 v3, v8, v3
	v_lshl_or_b32 v7, v6, 12, v2
	v_cmp_gt_i32_e32 vcc, 1, v6
	v_cndmask_b32_e32 v3, v7, v3, vcc
	v_and_b32_e32 v7, 7, v3
	v_cmp_lt_i32_e32 vcc, 5, v7
	v_cndmask_b32_e64 v8, 0, 1, vcc
	v_cmp_eq_u32_e32 vcc, 3, v7
	v_cndmask_b32_e64 v7, 0, 1, vcc
	v_or_b32_e32 v7, v7, v8
	v_lshrrev_b32_e32 v3, 2, v3
	v_add_u32_e32 v3, v3, v7
	v_mov_b32_e32 v7, 0x7c00
	v_cmp_gt_i32_e32 vcc, 31, v6
	v_cndmask_b32_e32 v3, v7, v3, vcc
	v_mov_b32_e32 v8, 0x7e00
	v_cmp_ne_u32_e32 vcc, 0, v2
	s_movk_i32 s6, 0x40f
	v_cndmask_b32_e32 v2, v7, v8, vcc
	v_cmp_eq_u32_e32 vcc, s6, v6
	v_cndmask_b32_e32 v2, v3, v2, vcc
	v_lshrrev_b32_e32 v3, 16, v1
	s_mov_b32 s6, 0x8000
	v_and_or_b32 v2, v3, s6, v2
	v_and_b32_e32 v2, 0xffff, v2
	global_store_dword v[4:5], v2, off
.LBB7_369:
	s_mov_b64 s[6:7], 0
.LBB7_370:
	s_andn2_b64 vcc, exec, s[6:7]
	s_cbranch_vccnz .LBB7_379
; %bb.371:
	s_cmp_lt_i32 s8, 6
	s_mov_b64 s[6:7], -1
	s_cbranch_scc1 .LBB7_377
; %bb.372:
	s_cmp_gt_i32 s8, 6
	s_cbranch_scc0 .LBB7_374
; %bb.373:
	s_mov_b64 s[6:7], 0
	global_store_dwordx2 v[4:5], v[0:1], off
.LBB7_374:
	s_andn2_b64 vcc, exec, s[6:7]
	s_cbranch_vccnz .LBB7_376
; %bb.375:
	v_cvt_f32_f64_e32 v2, v[0:1]
	global_store_dword v[4:5], v2, off
.LBB7_376:
	s_mov_b64 s[6:7], 0
.LBB7_377:
	s_andn2_b64 vcc, exec, s[6:7]
	s_cbranch_vccnz .LBB7_379
; %bb.378:
	s_movk_i32 s6, 0x1ff
	v_and_or_b32 v2, v1, s6, v0
	v_cmp_ne_u32_e32 vcc, 0, v2
	v_cndmask_b32_e64 v2, 0, 1, vcc
	v_lshrrev_b32_e32 v3, 8, v1
	s_movk_i32 s6, 0xffe
	v_bfe_u32 v6, v1, 20, 11
	v_and_or_b32 v2, v3, s6, v2
	v_sub_u32_e32 v7, 0x3f1, v6
	v_or_b32_e32 v3, 0x1000, v2
	v_med3_i32 v7, v7, 0, 13
	v_lshrrev_b32_e32 v8, v7, v3
	v_lshlrev_b32_e32 v7, v7, v8
	v_cmp_ne_u32_e32 vcc, v7, v3
	v_cndmask_b32_e64 v3, 0, 1, vcc
	v_add_u32_e32 v6, 0xfffffc10, v6
	v_or_b32_e32 v3, v8, v3
	v_lshl_or_b32 v7, v6, 12, v2
	v_cmp_gt_i32_e32 vcc, 1, v6
	v_cndmask_b32_e32 v3, v7, v3, vcc
	v_and_b32_e32 v7, 7, v3
	v_cmp_lt_i32_e32 vcc, 5, v7
	v_cndmask_b32_e64 v8, 0, 1, vcc
	v_cmp_eq_u32_e32 vcc, 3, v7
	v_cndmask_b32_e64 v7, 0, 1, vcc
	v_or_b32_e32 v7, v7, v8
	v_lshrrev_b32_e32 v3, 2, v3
	v_add_u32_e32 v3, v3, v7
	v_mov_b32_e32 v7, 0x7c00
	v_cmp_gt_i32_e32 vcc, 31, v6
	v_cndmask_b32_e32 v3, v7, v3, vcc
	v_mov_b32_e32 v8, 0x7e00
	v_cmp_ne_u32_e32 vcc, 0, v2
	s_movk_i32 s6, 0x40f
	v_cndmask_b32_e32 v2, v7, v8, vcc
	v_cmp_eq_u32_e32 vcc, s6, v6
	v_cndmask_b32_e32 v2, v3, v2, vcc
	v_lshrrev_b32_e32 v3, 16, v1
	s_mov_b32 s6, 0x8000
	v_and_or_b32 v2, v3, s6, v2
	global_store_short v[4:5], v2, off
.LBB7_379:
	s_mov_b64 s[6:7], 0
.LBB7_380:
	s_andn2_b64 vcc, exec, s[6:7]
	s_cbranch_vccnz .LBB7_396
; %bb.381:
	s_cmp_lt_i32 s8, 2
	s_mov_b64 s[6:7], -1
	s_cbranch_scc1 .LBB7_391
; %bb.382:
	s_cmp_lt_i32 s8, 3
	s_cbranch_scc1 .LBB7_388
; %bb.383:
	s_cmp_gt_i32 s8, 3
	s_cbranch_scc0 .LBB7_385
; %bb.384:
	v_trunc_f64_e32 v[2:3], v[0:1]
	s_movk_i32 s6, 0xffe0
	v_ldexp_f64 v[6:7], v[2:3], s6
	s_mov_b32 s6, 0
	s_mov_b32 s7, 0xc1f00000
	v_floor_f64_e32 v[6:7], v[6:7]
	v_fma_f64 v[2:3], v[6:7], s[6:7], v[2:3]
	v_cvt_i32_f64_e32 v7, v[6:7]
	s_mov_b64 s[6:7], 0
	v_cvt_u32_f64_e32 v6, v[2:3]
	global_store_dwordx2 v[4:5], v[6:7], off
.LBB7_385:
	s_andn2_b64 vcc, exec, s[6:7]
	s_cbranch_vccnz .LBB7_387
; %bb.386:
	v_cvt_i32_f64_e32 v2, v[0:1]
	global_store_dword v[4:5], v2, off
.LBB7_387:
	s_mov_b64 s[6:7], 0
.LBB7_388:
	s_andn2_b64 vcc, exec, s[6:7]
	s_cbranch_vccnz .LBB7_390
; %bb.389:
	v_cvt_i32_f64_e32 v2, v[0:1]
	global_store_short v[4:5], v2, off
.LBB7_390:
	s_mov_b64 s[6:7], 0
.LBB7_391:
	s_andn2_b64 vcc, exec, s[6:7]
	s_cbranch_vccnz .LBB7_396
; %bb.392:
	s_cmp_gt_i32 s8, 0
	s_mov_b64 s[6:7], -1
	s_cbranch_scc0 .LBB7_394
; %bb.393:
	v_cvt_i32_f64_e32 v2, v[0:1]
	s_mov_b64 s[6:7], 0
	global_store_byte v[4:5], v2, off
.LBB7_394:
	s_andn2_b64 vcc, exec, s[6:7]
	s_cbranch_vccnz .LBB7_396
; %bb.395:
	v_trunc_f64_e32 v[0:1], v[0:1]
	s_movk_i32 s6, 0xffe0
	v_ldexp_f64 v[2:3], v[0:1], s6
	s_mov_b32 s6, 0
	s_mov_b32 s7, 0xc1f00000
	v_floor_f64_e32 v[2:3], v[2:3]
	v_fma_f64 v[0:1], v[2:3], s[6:7], v[0:1]
	v_cvt_u32_f64_e32 v0, v[0:1]
	global_store_byte v[4:5], v0, off
.LBB7_396:
	s_mov_b64 s[6:7], -1
.LBB7_397:
	s_andn2_b64 vcc, exec, s[6:7]
	s_cbranch_vccnz .LBB7_399
; %bb.398:
	v_add_u32_e32 v44, 0x80, v44
	s_mov_b64 s[6:7], -1
	s_branch .LBB7_511
.LBB7_399:
	s_mov_b64 s[6:7], 0
                                        ; implicit-def: $vgpr44
	s_branch .LBB7_511
.LBB7_400:
	s_mov_b64 s[54:55], -1
                                        ; implicit-def: $vgpr0_vgpr1
.LBB7_401:
	s_mov_b64 s[6:7], 0
.LBB7_402:
	s_and_b64 vcc, exec, s[6:7]
	s_cbranch_vccz .LBB7_406
; %bb.403:
	s_cmp_eq_u32 s10, 29
	s_cbranch_scc0 .LBB7_405
; %bb.404:
	global_load_dwordx2 v[0:1], v[2:3], off
	s_mov_b64 s[4:5], -1
	s_mov_b64 s[54:55], 0
	s_mov_b64 s[6:7], 0
	s_waitcnt vmcnt(0)
	v_cvt_f64_u32_e32 v[4:5], v1
	v_cvt_f64_u32_e32 v[0:1], v0
	v_ldexp_f64 v[4:5], v[4:5], 32
	v_add_f64 v[0:1], v[4:5], v[0:1]
	s_branch .LBB7_407
.LBB7_405:
	s_mov_b64 s[54:55], -1
                                        ; implicit-def: $vgpr0_vgpr1
.LBB7_406:
	s_mov_b64 s[6:7], 0
.LBB7_407:
	s_and_b64 vcc, exec, s[6:7]
	s_cbranch_vccz .LBB7_427
; %bb.408:
	s_cmp_lt_i32 s10, 27
	s_cbranch_scc1 .LBB7_411
; %bb.409:
	s_cmp_gt_i32 s10, 27
	s_cbranch_scc0 .LBB7_412
; %bb.410:
	global_load_dword v0, v[2:3], off
	s_mov_b64 s[4:5], 0
	s_waitcnt vmcnt(0)
	v_cvt_f64_u32_e32 v[0:1], v0
	s_branch .LBB7_413
.LBB7_411:
	s_mov_b64 s[4:5], -1
                                        ; implicit-def: $vgpr0_vgpr1
	s_branch .LBB7_416
.LBB7_412:
	s_mov_b64 s[4:5], -1
                                        ; implicit-def: $vgpr0_vgpr1
.LBB7_413:
	s_andn2_b64 vcc, exec, s[4:5]
	s_cbranch_vccnz .LBB7_415
; %bb.414:
	global_load_ushort v0, v[2:3], off
	s_waitcnt vmcnt(0)
	v_cvt_f64_u32_e32 v[0:1], v0
.LBB7_415:
	s_mov_b64 s[4:5], 0
.LBB7_416:
	s_andn2_b64 vcc, exec, s[4:5]
	s_cbranch_vccnz .LBB7_426
; %bb.417:
	global_load_ubyte v4, v[2:3], off
	s_movk_i32 s4, 0x7f
	s_waitcnt vmcnt(0)
	v_cmp_lt_i16_e32 vcc, s4, v4
	s_mov_b64 s[4:5], 0
	s_and_saveexec_b64 s[6:7], vcc
	s_xor_b64 s[6:7], exec, s[6:7]
	s_cbranch_execz .LBB7_421
; %bb.418:
	s_movk_i32 s4, 0x80
	v_cmp_eq_u16_e32 vcc, s4, v4
	s_mov_b64 s[4:5], -1
	s_and_saveexec_b64 s[8:9], vcc
; %bb.419:
	s_xor_b64 s[4:5], exec, -1
; %bb.420:
	s_or_b64 exec, exec, s[8:9]
	s_and_b64 s[4:5], s[4:5], exec
.LBB7_421:
	s_or_saveexec_b64 s[6:7], s[6:7]
	v_bfrev_b32_e32 v0, 4
	v_mov_b32_e32 v1, 0x7ff80000
	s_xor_b64 exec, exec, s[6:7]
; %bb.422:
	v_cmp_ne_u16_e32 vcc, 0, v4
	v_mov_b32_e32 v0, 0
	s_andn2_b64 s[4:5], s[4:5], exec
	s_and_b64 s[8:9], vcc, exec
	v_mov_b32_e32 v1, 0
	s_or_b64 s[4:5], s[4:5], s[8:9]
; %bb.423:
	s_or_b64 exec, exec, s[6:7]
	s_and_saveexec_b64 s[6:7], s[4:5]
	s_cbranch_execz .LBB7_425
; %bb.424:
	v_and_b32_e32 v1, 0xffff, v4
	v_lshlrev_b32_e32 v0, 24, v4
	v_and_b32_e32 v4, 7, v1
	v_ffbh_u32_e32 v6, v4
	v_min_u32_e32 v6, 32, v6
	v_subrev_u32_e32 v7, 28, v6
	v_bfe_u32 v5, v1, 3, 4
	v_lshlrev_b32_e32 v1, v7, v1
	v_sub_u32_e32 v6, 29, v6
	v_and_b32_e32 v1, 7, v1
	v_cmp_eq_u32_e32 vcc, 0, v5
	v_cndmask_b32_e32 v5, v5, v6, vcc
	v_cndmask_b32_e32 v1, v4, v1, vcc
	v_mov_b32_e32 v4, 0x3b800000
	v_lshlrev_b32_e32 v1, 20, v1
	v_and_b32_e32 v0, 0x80000000, v0
	v_lshl_add_u32 v4, v5, 23, v4
	v_or3_b32 v0, v0, v4, v1
	v_cvt_f64_f32_e32 v[0:1], v0
.LBB7_425:
	s_or_b64 exec, exec, s[6:7]
.LBB7_426:
	s_mov_b64 s[4:5], -1
.LBB7_427:
	s_mov_b64 s[6:7], 0
.LBB7_428:
	s_and_b64 vcc, exec, s[6:7]
	s_cbranch_vccz .LBB7_461
; %bb.429:
	s_cmp_gt_i32 s10, 22
	s_cbranch_scc0 .LBB7_441
; %bb.430:
	s_cmp_lt_i32 s10, 24
	s_cbranch_scc1 .LBB7_442
; %bb.431:
	s_cmp_gt_i32 s10, 24
	s_cbranch_scc0 .LBB7_443
; %bb.432:
	global_load_ubyte v4, v[2:3], off
	s_movk_i32 s4, 0x7f
	s_waitcnt vmcnt(0)
	v_cmp_lt_i16_e32 vcc, s4, v4
	s_mov_b64 s[4:5], 0
	s_and_saveexec_b64 s[6:7], vcc
	s_xor_b64 s[6:7], exec, s[6:7]
	s_cbranch_execz .LBB7_436
; %bb.433:
	s_movk_i32 s4, 0x80
	v_cmp_eq_u16_e32 vcc, s4, v4
	s_mov_b64 s[4:5], -1
	s_and_saveexec_b64 s[8:9], vcc
; %bb.434:
	s_xor_b64 s[4:5], exec, -1
; %bb.435:
	s_or_b64 exec, exec, s[8:9]
	s_and_b64 s[4:5], s[4:5], exec
.LBB7_436:
	s_or_saveexec_b64 s[6:7], s[6:7]
	v_bfrev_b32_e32 v0, 4
	v_mov_b32_e32 v1, 0x7ff80000
	s_xor_b64 exec, exec, s[6:7]
; %bb.437:
	v_cmp_ne_u16_e32 vcc, 0, v4
	v_mov_b32_e32 v0, 0
	s_andn2_b64 s[4:5], s[4:5], exec
	s_and_b64 s[8:9], vcc, exec
	v_mov_b32_e32 v1, 0
	s_or_b64 s[4:5], s[4:5], s[8:9]
; %bb.438:
	s_or_b64 exec, exec, s[6:7]
	s_and_saveexec_b64 s[6:7], s[4:5]
	s_cbranch_execz .LBB7_440
; %bb.439:
	v_and_b32_e32 v1, 0xffff, v4
	v_lshlrev_b32_e32 v0, 24, v4
	v_and_b32_e32 v4, 3, v1
	v_ffbh_u32_e32 v6, v4
	v_min_u32_e32 v6, 32, v6
	v_subrev_u32_e32 v7, 29, v6
	v_bfe_u32 v5, v1, 2, 5
	v_lshlrev_b32_e32 v1, v7, v1
	v_sub_u32_e32 v6, 30, v6
	v_and_b32_e32 v1, 3, v1
	v_cmp_eq_u32_e32 vcc, 0, v5
	v_cndmask_b32_e32 v5, v5, v6, vcc
	v_cndmask_b32_e32 v1, v4, v1, vcc
	v_mov_b32_e32 v4, 0x37800000
	v_lshlrev_b32_e32 v1, 21, v1
	v_and_b32_e32 v0, 0x80000000, v0
	v_lshl_add_u32 v4, v5, 23, v4
	v_or3_b32 v0, v0, v4, v1
	v_cvt_f64_f32_e32 v[0:1], v0
.LBB7_440:
	s_or_b64 exec, exec, s[6:7]
	s_mov_b64 s[4:5], 0
	s_branch .LBB7_444
.LBB7_441:
	s_mov_b64 s[6:7], -1
                                        ; implicit-def: $vgpr0_vgpr1
	s_branch .LBB7_450
.LBB7_442:
	s_mov_b64 s[4:5], -1
                                        ; implicit-def: $vgpr0_vgpr1
	s_branch .LBB7_447
.LBB7_443:
	s_mov_b64 s[4:5], -1
                                        ; implicit-def: $vgpr0_vgpr1
.LBB7_444:
	s_and_b64 vcc, exec, s[4:5]
	s_cbranch_vccz .LBB7_446
; %bb.445:
	global_load_ubyte v0, v[2:3], off
	s_mov_b32 s4, 0x7f800000
	s_waitcnt vmcnt(0)
	v_lshlrev_b32_e32 v0, 24, v0
	v_and_b32_e32 v1, 0x7f000000, v0
	v_ffbh_u32_e32 v4, v1
	v_min_u32_e32 v4, 32, v4
	v_sub_u32_e64 v4, v4, 4 clamp
	v_lshlrev_b32_e32 v6, v4, v1
	v_lshlrev_b32_e32 v4, 23, v4
	v_lshrrev_b32_e32 v6, 4, v6
	v_add_u32_e32 v5, 0x1000000, v1
	v_sub_u32_e32 v4, v6, v4
	v_ashrrev_i32_e32 v5, 8, v5
	v_add_u32_e32 v4, 0x3c000000, v4
	v_and_or_b32 v4, v5, s4, v4
	v_cmp_ne_u32_e32 vcc, 0, v1
	v_cndmask_b32_e32 v1, 0, v4, vcc
	s_brev_b32 s4, 1
	v_and_or_b32 v0, v0, s4, v1
	v_cvt_f64_f32_e32 v[0:1], v0
.LBB7_446:
	s_mov_b64 s[4:5], 0
.LBB7_447:
	s_andn2_b64 vcc, exec, s[4:5]
	s_cbranch_vccnz .LBB7_449
; %bb.448:
	global_load_ubyte v0, v[2:3], off
	s_movk_i32 s4, 0x7f00
	s_brev_b32 s5, 16
	s_waitcnt vmcnt(0)
	v_lshlrev_b16_e32 v1, 8, v0
	v_lshlrev_b32_e32 v0, 25, v0
	v_lshrrev_b32_e32 v4, 4, v0
	v_and_or_b32 v5, v1, s4, 0.5
	v_or_b32_e32 v4, 0x70000000, v4
	v_add_f32_e32 v5, -0.5, v5
	v_mul_f32_e32 v4, 0x7800000, v4
	v_cmp_gt_u32_e32 vcc, s5, v0
	v_bfe_i32 v1, v1, 0, 16
	v_cndmask_b32_e32 v0, v4, v5, vcc
	s_brev_b32 s4, 1
	v_and_or_b32 v0, v1, s4, v0
	v_cvt_f64_f32_e32 v[0:1], v0
.LBB7_449:
	s_mov_b64 s[6:7], 0
	s_mov_b64 s[4:5], -1
.LBB7_450:
	s_andn2_b64 vcc, exec, s[6:7]
	s_cbranch_vccnz .LBB7_461
; %bb.451:
	s_cmp_gt_i32 s10, 14
	s_cbranch_scc0 .LBB7_454
; %bb.452:
	s_cmp_eq_u32 s10, 15
	s_cbranch_scc0 .LBB7_455
; %bb.453:
	global_load_ushort v0, v[2:3], off
	s_mov_b64 s[4:5], -1
	s_mov_b64 s[54:55], 0
	s_waitcnt vmcnt(0)
	v_lshlrev_b32_e32 v0, 16, v0
	v_cvt_f64_f32_e32 v[0:1], v0
	s_branch .LBB7_456
.LBB7_454:
	s_mov_b64 s[6:7], -1
                                        ; implicit-def: $vgpr0_vgpr1
	s_branch .LBB7_457
.LBB7_455:
	s_mov_b64 s[54:55], -1
                                        ; implicit-def: $vgpr0_vgpr1
.LBB7_456:
	s_mov_b64 s[6:7], 0
.LBB7_457:
	s_and_b64 vcc, exec, s[6:7]
	s_cbranch_vccz .LBB7_461
; %bb.458:
	s_cmp_eq_u32 s10, 11
	s_cbranch_scc0 .LBB7_460
; %bb.459:
	global_load_ubyte v1, v[2:3], off
	v_mov_b32_e32 v4, 0x3ff00000
	v_mov_b32_e32 v0, 0
	s_mov_b64 s[4:5], -1
	s_mov_b64 s[54:55], 0
	s_waitcnt vmcnt(0)
	v_cmp_ne_u16_e32 vcc, 0, v1
	v_cndmask_b32_e32 v1, 0, v4, vcc
	s_branch .LBB7_461
.LBB7_460:
	s_mov_b64 s[54:55], -1
                                        ; implicit-def: $vgpr0_vgpr1
.LBB7_461:
	s_branch .LBB7_264
.LBB7_462:
	s_cmp_lt_i32 s10, 5
	s_cbranch_scc1 .LBB7_467
; %bb.463:
	s_cmp_lt_i32 s10, 8
	s_cbranch_scc1 .LBB7_468
; %bb.464:
	s_cmp_lt_i32 s10, 9
	s_cbranch_scc1 .LBB7_469
; %bb.465:
	s_cmp_gt_i32 s10, 9
	s_cbranch_scc0 .LBB7_470
; %bb.466:
	global_load_dwordx2 v[0:1], v[2:3], off
	s_mov_b64 s[4:5], 0
	s_branch .LBB7_471
.LBB7_467:
	s_mov_b64 s[4:5], -1
                                        ; implicit-def: $vgpr0_vgpr1
	s_branch .LBB7_489
.LBB7_468:
	s_mov_b64 s[4:5], -1
                                        ; implicit-def: $vgpr0_vgpr1
	s_branch .LBB7_477
.LBB7_469:
	s_mov_b64 s[4:5], -1
                                        ; implicit-def: $vgpr0_vgpr1
	s_branch .LBB7_474
.LBB7_470:
	s_mov_b64 s[4:5], -1
                                        ; implicit-def: $vgpr0_vgpr1
.LBB7_471:
	s_andn2_b64 vcc, exec, s[4:5]
	s_cbranch_vccnz .LBB7_473
; %bb.472:
	global_load_dword v0, v[2:3], off
	s_waitcnt vmcnt(0)
	v_cvt_f64_f32_e32 v[0:1], v0
.LBB7_473:
	s_mov_b64 s[4:5], 0
.LBB7_474:
	s_andn2_b64 vcc, exec, s[4:5]
	s_cbranch_vccnz .LBB7_476
; %bb.475:
	global_load_dword v0, v[2:3], off
	s_waitcnt vmcnt(0)
	v_cvt_f32_f16_e32 v0, v0
	v_cvt_f64_f32_e32 v[0:1], v0
.LBB7_476:
	s_mov_b64 s[4:5], 0
.LBB7_477:
	s_andn2_b64 vcc, exec, s[4:5]
	s_cbranch_vccnz .LBB7_488
; %bb.478:
	s_cmp_lt_i32 s10, 6
	s_cbranch_scc1 .LBB7_481
; %bb.479:
	s_cmp_gt_i32 s10, 6
	s_cbranch_scc0 .LBB7_482
; %bb.480:
	global_load_dwordx2 v[0:1], v[2:3], off
	s_mov_b64 s[4:5], 0
	s_branch .LBB7_483
.LBB7_481:
	s_mov_b64 s[4:5], -1
                                        ; implicit-def: $vgpr0_vgpr1
	s_branch .LBB7_486
.LBB7_482:
	s_mov_b64 s[4:5], -1
                                        ; implicit-def: $vgpr0_vgpr1
.LBB7_483:
	s_andn2_b64 vcc, exec, s[4:5]
	s_cbranch_vccnz .LBB7_485
; %bb.484:
	global_load_dword v0, v[2:3], off
	s_waitcnt vmcnt(0)
	v_cvt_f64_f32_e32 v[0:1], v0
.LBB7_485:
	s_mov_b64 s[4:5], 0
.LBB7_486:
	s_andn2_b64 vcc, exec, s[4:5]
	s_cbranch_vccnz .LBB7_488
; %bb.487:
	global_load_ushort v0, v[2:3], off
	s_waitcnt vmcnt(0)
	v_cvt_f32_f16_e32 v0, v0
	v_cvt_f64_f32_e32 v[0:1], v0
.LBB7_488:
	s_mov_b64 s[4:5], 0
.LBB7_489:
	s_andn2_b64 vcc, exec, s[4:5]
	s_cbranch_vccnz .LBB7_509
; %bb.490:
	s_cmp_lt_i32 s10, 2
	s_cbranch_scc1 .LBB7_494
; %bb.491:
	s_cmp_lt_i32 s10, 3
	s_cbranch_scc1 .LBB7_495
; %bb.492:
	s_cmp_gt_i32 s10, 3
	s_cbranch_scc0 .LBB7_496
; %bb.493:
	global_load_dwordx2 v[0:1], v[2:3], off
	s_mov_b64 s[4:5], 0
	s_waitcnt vmcnt(0)
	v_cvt_f64_i32_e32 v[4:5], v1
	v_cvt_f64_u32_e32 v[0:1], v0
	v_ldexp_f64 v[4:5], v[4:5], 32
	v_add_f64 v[0:1], v[4:5], v[0:1]
	s_branch .LBB7_497
.LBB7_494:
	s_mov_b64 s[4:5], -1
                                        ; implicit-def: $vgpr0_vgpr1
	s_branch .LBB7_503
.LBB7_495:
	s_mov_b64 s[4:5], -1
                                        ; implicit-def: $vgpr0_vgpr1
	s_branch .LBB7_500
.LBB7_496:
	s_mov_b64 s[4:5], -1
                                        ; implicit-def: $vgpr0_vgpr1
.LBB7_497:
	s_andn2_b64 vcc, exec, s[4:5]
	s_cbranch_vccnz .LBB7_499
; %bb.498:
	global_load_dword v0, v[2:3], off
	s_waitcnt vmcnt(0)
	v_cvt_f64_i32_e32 v[0:1], v0
.LBB7_499:
	s_mov_b64 s[4:5], 0
.LBB7_500:
	s_andn2_b64 vcc, exec, s[4:5]
	s_cbranch_vccnz .LBB7_502
; %bb.501:
	global_load_sshort v0, v[2:3], off
	s_waitcnt vmcnt(0)
	v_cvt_f64_i32_e32 v[0:1], v0
.LBB7_502:
	s_mov_b64 s[4:5], 0
.LBB7_503:
	s_andn2_b64 vcc, exec, s[4:5]
	s_cbranch_vccnz .LBB7_509
; %bb.504:
	s_cmp_gt_i32 s10, 0
	s_cbranch_scc0 .LBB7_506
; %bb.505:
	global_load_sbyte v0, v[2:3], off
	s_mov_b64 s[4:5], 0
	s_waitcnt vmcnt(0)
	v_cvt_f64_i32_e32 v[0:1], v0
	s_branch .LBB7_507
.LBB7_506:
	s_mov_b64 s[4:5], -1
                                        ; implicit-def: $vgpr0_vgpr1
.LBB7_507:
	s_andn2_b64 vcc, exec, s[4:5]
	s_cbranch_vccnz .LBB7_509
; %bb.508:
	global_load_ubyte v0, v[2:3], off
	s_waitcnt vmcnt(0)
	v_cvt_f64_u32_e32 v[0:1], v0
.LBB7_509:
	s_branch .LBB7_265
.LBB7_510:
	s_mov_b64 s[6:7], 0
                                        ; implicit-def: $vgpr44
	s_mov_b64 s[4:5], s[48:49]
.LBB7_511:
	s_andn2_b64 s[8:9], s[48:49], exec
	s_and_b64 s[4:5], s[4:5], exec
	s_or_b64 s[56:57], s[8:9], s[4:5]
	s_andn2_b64 s[4:5], s[50:51], exec
	s_and_b64 s[8:9], s[54:55], exec
	s_or_b64 s[54:55], s[4:5], s[8:9]
	s_orn2_b64 s[4:5], s[6:7], exec
.LBB7_512:
	s_or_b64 exec, exec, s[58:59]
	s_mov_b64 s[6:7], 0
	s_mov_b64 s[8:9], 0
	;; [unrolled: 1-line block ×3, first 2 shown]
                                        ; implicit-def: $vgpr0_vgpr1
                                        ; implicit-def: $vgpr2_vgpr3
	s_and_saveexec_b64 s[58:59], s[4:5]
	s_cbranch_execz .LBB7_857
; %bb.513:
	v_cmp_gt_i32_e32 vcc, s65, v44
	s_mov_b64 s[14:15], -1
	s_mov_b64 s[4:5], s[54:55]
	s_mov_b64 s[6:7], s[56:57]
	s_and_saveexec_b64 s[60:61], vcc
	s_cbranch_execz .LBB7_771
; %bb.514:
	s_waitcnt vmcnt(0)
	v_mul_lo_u32 v0, v44, s35
	v_mov_b32_e32 v1, s39
	s_and_b32 s10, 0xffff, s64
	s_cmp_lt_i32 s10, 11
	v_ashrrev_i32_e32 v3, 31, v0
	v_add_co_u32_e32 v2, vcc, s38, v0
	v_addc_co_u32_e32 v3, vcc, v1, v3, vcc
	s_cbranch_scc1 .LBB7_521
; %bb.515:
	s_cmp_gt_i32 s10, 25
	s_cbranch_scc0 .LBB7_522
; %bb.516:
	s_cmp_gt_i32 s10, 28
	s_cbranch_scc0 .LBB7_523
	;; [unrolled: 3-line block ×4, first 2 shown]
; %bb.519:
	s_cmp_eq_u32 s10, 46
	s_mov_b64 s[6:7], 0
	s_cbranch_scc0 .LBB7_530
; %bb.520:
	global_load_dword v0, v[2:3], off
	s_mov_b64 s[4:5], -1
	s_mov_b64 s[62:63], 0
	s_waitcnt vmcnt(0)
	v_lshlrev_b32_e32 v0, 16, v0
	v_cvt_f64_f32_e32 v[0:1], v0
	s_branch .LBB7_531
.LBB7_521:
	s_mov_b64 s[6:7], -1
	s_mov_b64 s[4:5], 0
                                        ; implicit-def: $vgpr0_vgpr1
	s_mov_b64 s[62:63], s[54:55]
	s_branch .LBB7_596
.LBB7_522:
	s_mov_b64 s[6:7], -1
	s_mov_b64 s[4:5], 0
	s_mov_b64 s[62:63], s[54:55]
                                        ; implicit-def: $vgpr0_vgpr1
	s_branch .LBB7_562
.LBB7_523:
	s_mov_b64 s[6:7], -1
	s_mov_b64 s[4:5], 0
	s_mov_b64 s[62:63], s[54:55]
                                        ; implicit-def: $vgpr0_vgpr1
	s_branch .LBB7_541
.LBB7_524:
	s_mov_b64 s[6:7], -1
	s_mov_b64 s[4:5], 0
	s_mov_b64 s[62:63], s[54:55]
                                        ; implicit-def: $vgpr0_vgpr1
	s_branch .LBB7_536
.LBB7_525:
	s_andn2_saveexec_b64 s[10:11], s[10:11]
	s_cbranch_execz .LBB7_310
.LBB7_526:
	s_mov_b32 s14, 0x46000000
	v_add_f32_e64 v3, |v2|, s14
	v_and_b32_e32 v3, 0xff, v3
	v_cmp_ne_u32_e32 vcc, 0, v3
	s_andn2_b64 s[8:9], s[8:9], exec
	s_and_b64 s[14:15], vcc, exec
	s_or_b64 s[8:9], s[8:9], s[14:15]
	s_or_b64 exec, exec, s[10:11]
	v_mov_b32_e32 v6, 0
	s_and_saveexec_b64 s[10:11], s[8:9]
	s_cbranch_execnz .LBB7_311
	s_branch .LBB7_312
.LBB7_527:
	s_mov_b64 s[6:7], -1
	s_mov_b64 s[4:5], 0
	s_mov_b64 s[62:63], s[54:55]
                                        ; implicit-def: $vgpr0_vgpr1
	s_branch .LBB7_531
.LBB7_528:
	s_andn2_saveexec_b64 s[10:11], s[10:11]
	s_cbranch_execz .LBB7_323
.LBB7_529:
	s_mov_b32 s14, 0x42800000
	v_add_f32_e64 v3, |v2|, s14
	v_and_b32_e32 v3, 0xff, v3
	v_cmp_ne_u32_e32 vcc, 0, v3
	s_andn2_b64 s[8:9], s[8:9], exec
	s_and_b64 s[14:15], vcc, exec
	s_or_b64 s[8:9], s[8:9], s[14:15]
	s_or_b64 exec, exec, s[10:11]
	v_mov_b32_e32 v6, 0
	s_and_saveexec_b64 s[10:11], s[8:9]
	s_cbranch_execnz .LBB7_324
	s_branch .LBB7_325
.LBB7_530:
	s_mov_b64 s[62:63], -1
                                        ; implicit-def: $vgpr0_vgpr1
	s_mov_b64 s[4:5], 0
.LBB7_531:
	s_and_b64 vcc, exec, s[6:7]
	s_cbranch_vccz .LBB7_535
; %bb.532:
	s_cmp_eq_u32 s10, 44
	s_cbranch_scc0 .LBB7_534
; %bb.533:
	global_load_ubyte v4, v[2:3], off
	s_movk_i32 s6, 0xff
	v_bfrev_b32_e32 v5, 4
	v_mov_b32_e32 v6, 0x7ff80000
	v_bfrev_b32_e32 v7, 28
	s_mov_b64 s[4:5], -1
	s_mov_b64 s[62:63], 0
	s_waitcnt vmcnt(0)
	v_lshlrev_b32_e32 v0, 23, v4
	v_cvt_f64_f32_e32 v[0:1], v0
	v_cmp_ne_u32_e32 vcc, s6, v4
	v_cndmask_b32_e32 v0, v5, v0, vcc
	v_cndmask_b32_e32 v1, v6, v1, vcc
	v_cmp_ne_u32_e32 vcc, 0, v4
	v_cndmask_b32_e32 v1, v7, v1, vcc
	v_cndmask_b32_e32 v0, 0, v0, vcc
	s_branch .LBB7_535
.LBB7_534:
	s_mov_b64 s[62:63], -1
                                        ; implicit-def: $vgpr0_vgpr1
.LBB7_535:
	s_mov_b64 s[6:7], 0
.LBB7_536:
	s_and_b64 vcc, exec, s[6:7]
	s_cbranch_vccz .LBB7_540
; %bb.537:
	s_cmp_eq_u32 s10, 29
	s_cbranch_scc0 .LBB7_539
; %bb.538:
	global_load_dwordx2 v[0:1], v[2:3], off
	s_mov_b64 s[4:5], -1
	s_mov_b64 s[62:63], 0
	s_mov_b64 s[6:7], 0
	s_waitcnt vmcnt(0)
	v_cvt_f64_u32_e32 v[4:5], v1
	v_cvt_f64_u32_e32 v[0:1], v0
	v_ldexp_f64 v[4:5], v[4:5], 32
	v_add_f64 v[0:1], v[4:5], v[0:1]
	s_branch .LBB7_541
.LBB7_539:
	s_mov_b64 s[62:63], -1
                                        ; implicit-def: $vgpr0_vgpr1
.LBB7_540:
	s_mov_b64 s[6:7], 0
.LBB7_541:
	s_and_b64 vcc, exec, s[6:7]
	s_cbranch_vccz .LBB7_561
; %bb.542:
	s_cmp_lt_i32 s10, 27
	s_cbranch_scc1 .LBB7_545
; %bb.543:
	s_cmp_gt_i32 s10, 27
	s_cbranch_scc0 .LBB7_546
; %bb.544:
	global_load_dword v0, v[2:3], off
	s_mov_b64 s[4:5], 0
	s_waitcnt vmcnt(0)
	v_cvt_f64_u32_e32 v[0:1], v0
	s_branch .LBB7_547
.LBB7_545:
	s_mov_b64 s[4:5], -1
                                        ; implicit-def: $vgpr0_vgpr1
	s_branch .LBB7_550
.LBB7_546:
	s_mov_b64 s[4:5], -1
                                        ; implicit-def: $vgpr0_vgpr1
.LBB7_547:
	s_andn2_b64 vcc, exec, s[4:5]
	s_cbranch_vccnz .LBB7_549
; %bb.548:
	global_load_ushort v0, v[2:3], off
	s_waitcnt vmcnt(0)
	v_cvt_f64_u32_e32 v[0:1], v0
.LBB7_549:
	s_mov_b64 s[4:5], 0
.LBB7_550:
	s_andn2_b64 vcc, exec, s[4:5]
	s_cbranch_vccnz .LBB7_560
; %bb.551:
	global_load_ubyte v4, v[2:3], off
	s_movk_i32 s4, 0x7f
	s_waitcnt vmcnt(0)
	v_cmp_lt_i16_e32 vcc, s4, v4
	s_mov_b64 s[4:5], 0
	s_and_saveexec_b64 s[6:7], vcc
	s_xor_b64 s[6:7], exec, s[6:7]
	s_cbranch_execz .LBB7_555
; %bb.552:
	s_movk_i32 s4, 0x80
	v_cmp_eq_u16_e32 vcc, s4, v4
	s_mov_b64 s[4:5], -1
	s_and_saveexec_b64 s[8:9], vcc
; %bb.553:
	s_xor_b64 s[4:5], exec, -1
; %bb.554:
	s_or_b64 exec, exec, s[8:9]
	s_and_b64 s[4:5], s[4:5], exec
.LBB7_555:
	s_or_saveexec_b64 s[6:7], s[6:7]
	v_bfrev_b32_e32 v0, 4
	v_mov_b32_e32 v1, 0x7ff80000
	s_xor_b64 exec, exec, s[6:7]
; %bb.556:
	v_cmp_ne_u16_e32 vcc, 0, v4
	v_mov_b32_e32 v0, 0
	s_andn2_b64 s[4:5], s[4:5], exec
	s_and_b64 s[8:9], vcc, exec
	v_mov_b32_e32 v1, 0
	s_or_b64 s[4:5], s[4:5], s[8:9]
; %bb.557:
	s_or_b64 exec, exec, s[6:7]
	s_and_saveexec_b64 s[6:7], s[4:5]
	s_cbranch_execz .LBB7_559
; %bb.558:
	v_and_b32_e32 v1, 0xffff, v4
	v_lshlrev_b32_e32 v0, 24, v4
	v_and_b32_e32 v4, 7, v1
	v_ffbh_u32_e32 v6, v4
	v_min_u32_e32 v6, 32, v6
	v_subrev_u32_e32 v7, 28, v6
	v_bfe_u32 v5, v1, 3, 4
	v_lshlrev_b32_e32 v1, v7, v1
	v_sub_u32_e32 v6, 29, v6
	v_and_b32_e32 v1, 7, v1
	v_cmp_eq_u32_e32 vcc, 0, v5
	v_cndmask_b32_e32 v5, v5, v6, vcc
	v_cndmask_b32_e32 v1, v4, v1, vcc
	v_mov_b32_e32 v4, 0x3b800000
	v_lshlrev_b32_e32 v1, 20, v1
	v_and_b32_e32 v0, 0x80000000, v0
	v_lshl_add_u32 v4, v5, 23, v4
	v_or3_b32 v0, v0, v4, v1
	v_cvt_f64_f32_e32 v[0:1], v0
.LBB7_559:
	s_or_b64 exec, exec, s[6:7]
.LBB7_560:
	s_mov_b64 s[4:5], -1
.LBB7_561:
	s_mov_b64 s[6:7], 0
.LBB7_562:
	s_and_b64 vcc, exec, s[6:7]
	s_cbranch_vccz .LBB7_595
; %bb.563:
	s_cmp_gt_i32 s10, 22
	s_cbranch_scc0 .LBB7_575
; %bb.564:
	s_cmp_lt_i32 s10, 24
	s_cbranch_scc1 .LBB7_576
; %bb.565:
	s_cmp_gt_i32 s10, 24
	s_cbranch_scc0 .LBB7_577
; %bb.566:
	global_load_ubyte v4, v[2:3], off
	s_movk_i32 s4, 0x7f
	s_waitcnt vmcnt(0)
	v_cmp_lt_i16_e32 vcc, s4, v4
	s_mov_b64 s[4:5], 0
	s_and_saveexec_b64 s[6:7], vcc
	s_xor_b64 s[6:7], exec, s[6:7]
	s_cbranch_execz .LBB7_570
; %bb.567:
	s_movk_i32 s4, 0x80
	v_cmp_eq_u16_e32 vcc, s4, v4
	s_mov_b64 s[4:5], -1
	s_and_saveexec_b64 s[8:9], vcc
; %bb.568:
	s_xor_b64 s[4:5], exec, -1
; %bb.569:
	s_or_b64 exec, exec, s[8:9]
	s_and_b64 s[4:5], s[4:5], exec
.LBB7_570:
	s_or_saveexec_b64 s[6:7], s[6:7]
	v_bfrev_b32_e32 v0, 4
	v_mov_b32_e32 v1, 0x7ff80000
	s_xor_b64 exec, exec, s[6:7]
; %bb.571:
	v_cmp_ne_u16_e32 vcc, 0, v4
	v_mov_b32_e32 v0, 0
	s_andn2_b64 s[4:5], s[4:5], exec
	s_and_b64 s[8:9], vcc, exec
	v_mov_b32_e32 v1, 0
	s_or_b64 s[4:5], s[4:5], s[8:9]
; %bb.572:
	s_or_b64 exec, exec, s[6:7]
	s_and_saveexec_b64 s[6:7], s[4:5]
	s_cbranch_execz .LBB7_574
; %bb.573:
	v_and_b32_e32 v1, 0xffff, v4
	v_lshlrev_b32_e32 v0, 24, v4
	v_and_b32_e32 v4, 3, v1
	v_ffbh_u32_e32 v6, v4
	v_min_u32_e32 v6, 32, v6
	v_subrev_u32_e32 v7, 29, v6
	v_bfe_u32 v5, v1, 2, 5
	v_lshlrev_b32_e32 v1, v7, v1
	v_sub_u32_e32 v6, 30, v6
	v_and_b32_e32 v1, 3, v1
	v_cmp_eq_u32_e32 vcc, 0, v5
	v_cndmask_b32_e32 v5, v5, v6, vcc
	v_cndmask_b32_e32 v1, v4, v1, vcc
	v_mov_b32_e32 v4, 0x37800000
	v_lshlrev_b32_e32 v1, 21, v1
	v_and_b32_e32 v0, 0x80000000, v0
	v_lshl_add_u32 v4, v5, 23, v4
	v_or3_b32 v0, v0, v4, v1
	v_cvt_f64_f32_e32 v[0:1], v0
.LBB7_574:
	s_or_b64 exec, exec, s[6:7]
	s_mov_b64 s[4:5], 0
	s_branch .LBB7_578
.LBB7_575:
	s_mov_b64 s[6:7], -1
                                        ; implicit-def: $vgpr0_vgpr1
	s_branch .LBB7_584
.LBB7_576:
	s_mov_b64 s[4:5], -1
                                        ; implicit-def: $vgpr0_vgpr1
	s_branch .LBB7_581
.LBB7_577:
	s_mov_b64 s[4:5], -1
                                        ; implicit-def: $vgpr0_vgpr1
.LBB7_578:
	s_and_b64 vcc, exec, s[4:5]
	s_cbranch_vccz .LBB7_580
; %bb.579:
	global_load_ubyte v0, v[2:3], off
	s_mov_b32 s4, 0x7f800000
	s_waitcnt vmcnt(0)
	v_lshlrev_b32_e32 v0, 24, v0
	v_and_b32_e32 v1, 0x7f000000, v0
	v_ffbh_u32_e32 v4, v1
	v_min_u32_e32 v4, 32, v4
	v_sub_u32_e64 v4, v4, 4 clamp
	v_lshlrev_b32_e32 v6, v4, v1
	v_lshlrev_b32_e32 v4, 23, v4
	v_lshrrev_b32_e32 v6, 4, v6
	v_add_u32_e32 v5, 0x1000000, v1
	v_sub_u32_e32 v4, v6, v4
	v_ashrrev_i32_e32 v5, 8, v5
	v_add_u32_e32 v4, 0x3c000000, v4
	v_and_or_b32 v4, v5, s4, v4
	v_cmp_ne_u32_e32 vcc, 0, v1
	v_cndmask_b32_e32 v1, 0, v4, vcc
	s_brev_b32 s4, 1
	v_and_or_b32 v0, v0, s4, v1
	v_cvt_f64_f32_e32 v[0:1], v0
.LBB7_580:
	s_mov_b64 s[4:5], 0
.LBB7_581:
	s_andn2_b64 vcc, exec, s[4:5]
	s_cbranch_vccnz .LBB7_583
; %bb.582:
	global_load_ubyte v0, v[2:3], off
	s_movk_i32 s4, 0x7f00
	s_brev_b32 s5, 16
	s_waitcnt vmcnt(0)
	v_lshlrev_b16_e32 v1, 8, v0
	v_lshlrev_b32_e32 v0, 25, v0
	v_lshrrev_b32_e32 v4, 4, v0
	v_and_or_b32 v5, v1, s4, 0.5
	v_or_b32_e32 v4, 0x70000000, v4
	v_add_f32_e32 v5, -0.5, v5
	v_mul_f32_e32 v4, 0x7800000, v4
	v_cmp_gt_u32_e32 vcc, s5, v0
	v_bfe_i32 v1, v1, 0, 16
	v_cndmask_b32_e32 v0, v4, v5, vcc
	s_brev_b32 s4, 1
	v_and_or_b32 v0, v1, s4, v0
	v_cvt_f64_f32_e32 v[0:1], v0
.LBB7_583:
	s_mov_b64 s[6:7], 0
	s_mov_b64 s[4:5], -1
.LBB7_584:
	s_andn2_b64 vcc, exec, s[6:7]
	s_cbranch_vccnz .LBB7_595
; %bb.585:
	s_cmp_gt_i32 s10, 14
	s_cbranch_scc0 .LBB7_588
; %bb.586:
	s_cmp_eq_u32 s10, 15
	s_cbranch_scc0 .LBB7_589
; %bb.587:
	global_load_ushort v0, v[2:3], off
	s_mov_b64 s[4:5], -1
	s_mov_b64 s[62:63], 0
	s_waitcnt vmcnt(0)
	v_lshlrev_b32_e32 v0, 16, v0
	v_cvt_f64_f32_e32 v[0:1], v0
	s_branch .LBB7_590
.LBB7_588:
	s_mov_b64 s[6:7], -1
                                        ; implicit-def: $vgpr0_vgpr1
	s_branch .LBB7_591
.LBB7_589:
	s_mov_b64 s[62:63], -1
                                        ; implicit-def: $vgpr0_vgpr1
.LBB7_590:
	s_mov_b64 s[6:7], 0
.LBB7_591:
	s_and_b64 vcc, exec, s[6:7]
	s_cbranch_vccz .LBB7_595
; %bb.592:
	s_cmp_eq_u32 s10, 11
	s_cbranch_scc0 .LBB7_594
; %bb.593:
	global_load_ubyte v1, v[2:3], off
	v_mov_b32_e32 v4, 0x3ff00000
	v_mov_b32_e32 v0, 0
	s_mov_b64 s[4:5], -1
	s_mov_b64 s[62:63], 0
	s_waitcnt vmcnt(0)
	v_cmp_ne_u16_e32 vcc, 0, v1
	v_cndmask_b32_e32 v1, 0, v4, vcc
	s_branch .LBB7_595
.LBB7_594:
	s_mov_b64 s[62:63], -1
                                        ; implicit-def: $vgpr0_vgpr1
.LBB7_595:
	s_mov_b64 s[6:7], 0
.LBB7_596:
	s_and_b64 vcc, exec, s[6:7]
	s_cbranch_vccz .LBB7_645
; %bb.597:
	s_cmp_lt_i32 s10, 5
	s_cbranch_scc1 .LBB7_602
; %bb.598:
	s_cmp_lt_i32 s10, 8
	s_cbranch_scc1 .LBB7_603
	;; [unrolled: 3-line block ×3, first 2 shown]
; %bb.600:
	s_cmp_gt_i32 s10, 9
	s_cbranch_scc0 .LBB7_605
; %bb.601:
	global_load_dwordx2 v[0:1], v[2:3], off
	s_mov_b64 s[4:5], 0
	s_branch .LBB7_606
.LBB7_602:
	s_mov_b64 s[4:5], -1
                                        ; implicit-def: $vgpr0_vgpr1
	s_branch .LBB7_624
.LBB7_603:
	s_mov_b64 s[4:5], -1
                                        ; implicit-def: $vgpr0_vgpr1
	s_branch .LBB7_612
.LBB7_604:
	s_mov_b64 s[4:5], -1
                                        ; implicit-def: $vgpr0_vgpr1
	s_branch .LBB7_609
.LBB7_605:
	s_mov_b64 s[4:5], -1
                                        ; implicit-def: $vgpr0_vgpr1
.LBB7_606:
	s_andn2_b64 vcc, exec, s[4:5]
	s_cbranch_vccnz .LBB7_608
; %bb.607:
	global_load_dword v0, v[2:3], off
	s_waitcnt vmcnt(0)
	v_cvt_f64_f32_e32 v[0:1], v0
.LBB7_608:
	s_mov_b64 s[4:5], 0
.LBB7_609:
	s_andn2_b64 vcc, exec, s[4:5]
	s_cbranch_vccnz .LBB7_611
; %bb.610:
	global_load_dword v0, v[2:3], off
	s_waitcnt vmcnt(0)
	v_cvt_f32_f16_e32 v0, v0
	v_cvt_f64_f32_e32 v[0:1], v0
.LBB7_611:
	s_mov_b64 s[4:5], 0
.LBB7_612:
	s_andn2_b64 vcc, exec, s[4:5]
	s_cbranch_vccnz .LBB7_623
; %bb.613:
	s_cmp_lt_i32 s10, 6
	s_cbranch_scc1 .LBB7_616
; %bb.614:
	s_cmp_gt_i32 s10, 6
	s_cbranch_scc0 .LBB7_617
; %bb.615:
	global_load_dwordx2 v[0:1], v[2:3], off
	s_mov_b64 s[4:5], 0
	s_branch .LBB7_618
.LBB7_616:
	s_mov_b64 s[4:5], -1
                                        ; implicit-def: $vgpr0_vgpr1
	s_branch .LBB7_621
.LBB7_617:
	s_mov_b64 s[4:5], -1
                                        ; implicit-def: $vgpr0_vgpr1
.LBB7_618:
	s_andn2_b64 vcc, exec, s[4:5]
	s_cbranch_vccnz .LBB7_620
; %bb.619:
	global_load_dword v0, v[2:3], off
	s_waitcnt vmcnt(0)
	v_cvt_f64_f32_e32 v[0:1], v0
.LBB7_620:
	s_mov_b64 s[4:5], 0
.LBB7_621:
	s_andn2_b64 vcc, exec, s[4:5]
	s_cbranch_vccnz .LBB7_623
; %bb.622:
	global_load_ushort v0, v[2:3], off
	s_waitcnt vmcnt(0)
	v_cvt_f32_f16_e32 v0, v0
	v_cvt_f64_f32_e32 v[0:1], v0
.LBB7_623:
	s_mov_b64 s[4:5], 0
.LBB7_624:
	s_andn2_b64 vcc, exec, s[4:5]
	s_cbranch_vccnz .LBB7_644
; %bb.625:
	s_cmp_lt_i32 s10, 2
	s_cbranch_scc1 .LBB7_629
; %bb.626:
	s_cmp_lt_i32 s10, 3
	s_cbranch_scc1 .LBB7_630
; %bb.627:
	s_cmp_gt_i32 s10, 3
	s_cbranch_scc0 .LBB7_631
; %bb.628:
	global_load_dwordx2 v[0:1], v[2:3], off
	s_mov_b64 s[4:5], 0
	s_waitcnt vmcnt(0)
	v_cvt_f64_i32_e32 v[4:5], v1
	v_cvt_f64_u32_e32 v[0:1], v0
	v_ldexp_f64 v[4:5], v[4:5], 32
	v_add_f64 v[0:1], v[4:5], v[0:1]
	s_branch .LBB7_632
.LBB7_629:
	s_mov_b64 s[4:5], -1
                                        ; implicit-def: $vgpr0_vgpr1
	s_branch .LBB7_638
.LBB7_630:
	s_mov_b64 s[4:5], -1
                                        ; implicit-def: $vgpr0_vgpr1
	s_branch .LBB7_635
.LBB7_631:
	s_mov_b64 s[4:5], -1
                                        ; implicit-def: $vgpr0_vgpr1
.LBB7_632:
	s_andn2_b64 vcc, exec, s[4:5]
	s_cbranch_vccnz .LBB7_634
; %bb.633:
	global_load_dword v0, v[2:3], off
	s_waitcnt vmcnt(0)
	v_cvt_f64_i32_e32 v[0:1], v0
.LBB7_634:
	s_mov_b64 s[4:5], 0
.LBB7_635:
	s_andn2_b64 vcc, exec, s[4:5]
	s_cbranch_vccnz .LBB7_637
; %bb.636:
	global_load_sshort v0, v[2:3], off
	s_waitcnt vmcnt(0)
	v_cvt_f64_i32_e32 v[0:1], v0
.LBB7_637:
	s_mov_b64 s[4:5], 0
.LBB7_638:
	s_andn2_b64 vcc, exec, s[4:5]
	s_cbranch_vccnz .LBB7_644
; %bb.639:
	s_cmp_gt_i32 s10, 0
	s_cbranch_scc0 .LBB7_641
; %bb.640:
	global_load_sbyte v0, v[2:3], off
	s_mov_b64 s[4:5], 0
	s_waitcnt vmcnt(0)
	v_cvt_f64_i32_e32 v[0:1], v0
	s_branch .LBB7_642
.LBB7_641:
	s_mov_b64 s[4:5], -1
                                        ; implicit-def: $vgpr0_vgpr1
.LBB7_642:
	s_andn2_b64 vcc, exec, s[4:5]
	s_cbranch_vccnz .LBB7_644
; %bb.643:
	global_load_ubyte v0, v[2:3], off
	s_waitcnt vmcnt(0)
	v_cvt_f64_u32_e32 v[0:1], v0
.LBB7_644:
	s_mov_b64 s[4:5], -1
.LBB7_645:
	s_andn2_b64 vcc, exec, s[4:5]
	s_cbranch_vccnz .LBB7_653
; %bb.646:
	s_getpc_b64 s[4:5]
	s_add_u32 s4, s4, _ZZZZN2at6native12_GLOBAL__N_121bessel_j1_kernel_cudaERNS_18TensorIteratorBaseEENKUlvE_clEvENKUlvE_clEvENKUldE_clEd@rel32@lo+4
	s_addc_u32 s5, s5, _ZZZZN2at6native12_GLOBAL__N_121bessel_j1_kernel_cudaERNS_18TensorIteratorBaseEENKUlvE_clEvENKUlvE_clEvENKUldE_clEd@rel32@hi+12
	s_swappc_b64 s[30:31], s[4:5]
	v_mul_lo_u32 v2, v44, s34
	v_mov_b32_e32 v5, s37
	s_and_b32 s12, s33, 0xff
	s_cmp_lt_i32 s12, 11
	v_ashrrev_i32_e32 v3, 31, v2
	v_add_co_u32_e32 v4, vcc, s36, v2
	v_addc_co_u32_e32 v5, vcc, v5, v3, vcc
	s_cbranch_scc1 .LBB7_654
; %bb.647:
	s_and_b32 s13, 0xffff, s12
	s_cmp_gt_i32 s13, 25
	s_cbranch_scc0 .LBB7_655
; %bb.648:
	s_cmp_gt_i32 s13, 28
	s_cbranch_scc0 .LBB7_656
; %bb.649:
	;; [unrolled: 3-line block ×4, first 2 shown]
	s_mov_b64 s[8:9], 0
	s_mov_b64 s[4:5], -1
	s_cmp_eq_u32 s13, 46
	s_mov_b64 s[6:7], 0
	s_cbranch_scc0 .LBB7_659
; %bb.652:
	v_cvt_f32_f64_e32 v2, v[0:1]
	s_movk_i32 s4, 0x7fff
	v_mov_b32_e32 v3, 0x7fc0
	s_mov_b64 s[6:7], -1
	v_bfe_u32 v6, v2, 16, 1
	v_cmp_o_f32_e32 vcc, v2, v2
	v_add3_u32 v2, v2, v6, s4
	v_cndmask_b32_sdwa v2, v3, v2, vcc dst_sel:DWORD dst_unused:UNUSED_PAD src0_sel:DWORD src1_sel:WORD_1
	global_store_dword v[4:5], v2, off
	s_mov_b64 s[4:5], 0
	s_branch .LBB7_659
.LBB7_653:
	s_mov_b64 s[8:9], 0
                                        ; implicit-def: $vgpr44
	s_mov_b64 s[4:5], s[56:57]
	s_branch .LBB7_770
.LBB7_654:
	s_mov_b64 s[8:9], -1
	s_mov_b64 s[6:7], 0
	s_mov_b64 s[4:5], s[56:57]
	s_branch .LBB7_728
.LBB7_655:
	s_mov_b64 s[8:9], -1
	s_mov_b64 s[6:7], 0
	s_mov_b64 s[4:5], s[56:57]
	s_branch .LBB7_686
.LBB7_656:
	s_mov_b64 s[8:9], -1
	s_mov_b64 s[6:7], 0
	s_mov_b64 s[4:5], s[56:57]
	s_branch .LBB7_669
.LBB7_657:
	s_mov_b64 s[8:9], -1
	s_mov_b64 s[6:7], 0
	s_mov_b64 s[4:5], s[56:57]
	s_branch .LBB7_665
.LBB7_658:
	s_mov_b64 s[8:9], -1
	s_mov_b64 s[6:7], 0
	s_mov_b64 s[4:5], s[56:57]
.LBB7_659:
	s_and_b64 vcc, exec, s[8:9]
	s_cbranch_vccz .LBB7_664
; %bb.660:
	s_cmp_eq_u32 s13, 44
	s_mov_b64 s[4:5], -1
	s_cbranch_scc0 .LBB7_664
; %bb.661:
	v_cvt_f32_f64_e32 v2, v[0:1]
	s_movk_i32 s4, 0xff
	v_mov_b32_e32 v6, 0xff
	v_bfe_u32 v3, v2, 23, 8
	v_cmp_ne_u32_e32 vcc, s4, v3
	s_and_saveexec_b64 s[6:7], vcc
; %bb.662:
	s_mov_b32 s4, 0x3fffff
	v_lshrrev_b32_e32 v6, 23, v2
	v_and_b32_e32 v7, 0x400000, v2
	v_and_or_b32 v2, v2, s4, v3
	v_cmp_ne_u32_e32 vcc, 0, v7
	v_cmp_ne_u32_e64 s[4:5], 0, v2
	s_and_b64 s[4:5], vcc, s[4:5]
	v_cndmask_b32_e64 v2, 0, 1, s[4:5]
	v_add_u32_e32 v6, v6, v2
; %bb.663:
	s_or_b64 exec, exec, s[6:7]
	s_mov_b64 s[6:7], -1
	s_mov_b64 s[4:5], 0
	global_store_byte v[4:5], v6, off
.LBB7_664:
	s_mov_b64 s[8:9], 0
.LBB7_665:
	s_and_b64 vcc, exec, s[8:9]
	s_cbranch_vccz .LBB7_668
; %bb.666:
	s_cmp_eq_u32 s13, 29
	s_mov_b64 s[4:5], -1
	s_cbranch_scc0 .LBB7_668
; %bb.667:
	v_trunc_f64_e32 v[2:3], v[0:1]
	s_movk_i32 s4, 0xffe0
	s_mov_b64 s[6:7], -1
	s_mov_b64 s[8:9], 0
	v_ldexp_f64 v[6:7], v[2:3], s4
	s_mov_b32 s4, 0
	s_mov_b32 s5, 0xc1f00000
	v_floor_f64_e32 v[6:7], v[6:7]
	v_fma_f64 v[2:3], v[6:7], s[4:5], v[2:3]
	v_cvt_u32_f64_e32 v7, v[6:7]
	s_mov_b64 s[4:5], 0
	v_cvt_u32_f64_e32 v6, v[2:3]
	global_store_dwordx2 v[4:5], v[6:7], off
	s_branch .LBB7_669
.LBB7_668:
	s_mov_b64 s[8:9], 0
.LBB7_669:
	s_and_b64 vcc, exec, s[8:9]
	s_cbranch_vccz .LBB7_685
; %bb.670:
	s_cmp_lt_i32 s13, 27
	s_mov_b64 s[6:7], -1
	s_cbranch_scc1 .LBB7_676
; %bb.671:
	v_cvt_u32_f64_e32 v2, v[0:1]
	s_cmp_gt_i32 s13, 27
	s_cbranch_scc0 .LBB7_673
; %bb.672:
	s_mov_b64 s[6:7], 0
	global_store_dword v[4:5], v2, off
.LBB7_673:
	s_andn2_b64 vcc, exec, s[6:7]
	s_cbranch_vccnz .LBB7_675
; %bb.674:
	global_store_short v[4:5], v2, off
.LBB7_675:
	s_mov_b64 s[6:7], 0
.LBB7_676:
	s_andn2_b64 vcc, exec, s[6:7]
	s_cbranch_vccnz .LBB7_684
; %bb.677:
	v_cvt_f32_f64_e32 v2, v[0:1]
	s_mov_b32 s6, 0x43800000
	v_mov_b32_e32 v6, 0x80
	v_and_b32_e32 v3, 0x7fffffff, v2
	v_cmp_gt_u32_e32 vcc, s6, v3
	s_and_saveexec_b64 s[6:7], vcc
	s_cbranch_execz .LBB7_683
; %bb.678:
	s_mov_b32 s8, 0x3bffffff
	v_cmp_lt_u32_e32 vcc, s8, v3
	s_mov_b64 s[8:9], 0
                                        ; implicit-def: $vgpr3
	s_and_saveexec_b64 s[10:11], vcc
	s_xor_b64 s[10:11], exec, s[10:11]
	s_cbranch_execz .LBB7_784
; %bb.679:
	v_bfe_u32 v3, v2, 20, 1
	s_mov_b32 s14, 0x487ffff
	v_add3_u32 v3, v2, v3, s14
	s_mov_b64 s[8:9], exec
	v_lshrrev_b32_e32 v3, 20, v3
	s_andn2_saveexec_b64 s[10:11], s[10:11]
	s_cbranch_execnz .LBB7_785
.LBB7_680:
	s_or_b64 exec, exec, s[10:11]
	v_mov_b32_e32 v6, 0
	s_and_saveexec_b64 s[10:11], s[8:9]
.LBB7_681:
	v_lshrrev_b32_e32 v2, 24, v2
	s_movk_i32 s8, 0x80
	v_and_or_b32 v6, v2, s8, v3
.LBB7_682:
	s_or_b64 exec, exec, s[10:11]
.LBB7_683:
	s_or_b64 exec, exec, s[6:7]
	global_store_byte v[4:5], v6, off
.LBB7_684:
	s_mov_b64 s[6:7], -1
.LBB7_685:
	s_mov_b64 s[8:9], 0
.LBB7_686:
	s_and_b64 vcc, exec, s[8:9]
	s_cbranch_vccz .LBB7_727
; %bb.687:
	s_cmp_gt_i32 s13, 22
	s_mov_b64 s[8:9], -1
	s_cbranch_scc0 .LBB7_719
; %bb.688:
	s_cmp_lt_i32 s13, 24
	s_mov_b64 s[6:7], -1
	s_cbranch_scc1 .LBB7_708
; %bb.689:
	s_cmp_gt_i32 s13, 24
	s_cbranch_scc0 .LBB7_697
; %bb.690:
	v_cvt_f32_f64_e32 v2, v[0:1]
	s_mov_b32 s6, 0x47800000
	v_mov_b32_e32 v6, 0x80
	v_and_b32_e32 v3, 0x7fffffff, v2
	v_cmp_gt_u32_e32 vcc, s6, v3
	s_and_saveexec_b64 s[6:7], vcc
	s_cbranch_execz .LBB7_696
; %bb.691:
	s_mov_b32 s8, 0x37ffffff
	v_cmp_lt_u32_e32 vcc, s8, v3
	s_mov_b64 s[8:9], 0
                                        ; implicit-def: $vgpr3
	s_and_saveexec_b64 s[10:11], vcc
	s_xor_b64 s[10:11], exec, s[10:11]
	s_cbranch_execz .LBB7_787
; %bb.692:
	v_bfe_u32 v3, v2, 21, 1
	s_mov_b32 s14, 0x88fffff
	v_add3_u32 v3, v2, v3, s14
	s_mov_b64 s[8:9], exec
	v_lshrrev_b32_e32 v3, 21, v3
	s_andn2_saveexec_b64 s[10:11], s[10:11]
	s_cbranch_execnz .LBB7_788
.LBB7_693:
	s_or_b64 exec, exec, s[10:11]
	v_mov_b32_e32 v6, 0
	s_and_saveexec_b64 s[10:11], s[8:9]
.LBB7_694:
	v_lshrrev_b32_e32 v2, 24, v2
	s_movk_i32 s8, 0x80
	v_and_or_b32 v6, v2, s8, v3
.LBB7_695:
	s_or_b64 exec, exec, s[10:11]
.LBB7_696:
	s_or_b64 exec, exec, s[6:7]
	s_mov_b64 s[6:7], 0
	global_store_byte v[4:5], v6, off
.LBB7_697:
	s_and_b64 vcc, exec, s[6:7]
	s_cbranch_vccz .LBB7_707
; %bb.698:
	v_cvt_f32_f64_e32 v2, v[0:1]
	s_mov_b32 s6, 0x43f00000
                                        ; implicit-def: $vgpr3
	v_and_b32_e32 v6, 0x7fffffff, v2
	v_cmp_gt_u32_e32 vcc, s6, v6
	s_and_saveexec_b64 s[6:7], vcc
	s_xor_b64 s[6:7], exec, s[6:7]
	s_cbranch_execz .LBB7_704
; %bb.699:
	s_mov_b32 s8, 0x3c7fffff
	v_cmp_lt_u32_e32 vcc, s8, v6
                                        ; implicit-def: $vgpr3
	s_and_saveexec_b64 s[8:9], vcc
	s_xor_b64 s[8:9], exec, s[8:9]
; %bb.700:
	v_bfe_u32 v3, v2, 20, 1
	s_mov_b32 s10, 0x407ffff
	v_add3_u32 v3, v2, v3, s10
	v_lshrrev_b32_e32 v6, 20, v3
	v_and_b32_e32 v3, 0xff00000, v3
	s_mov_b32 s10, 0x7f00000
	v_mov_b32_e32 v7, 0x7e
	v_cmp_ne_u32_e32 vcc, s10, v3
	v_cndmask_b32_e32 v3, v7, v6, vcc
; %bb.701:
	s_andn2_saveexec_b64 s[8:9], s[8:9]
; %bb.702:
	s_mov_b32 s10, 0x46800000
	v_add_f32_e64 v3, |v2|, s10
; %bb.703:
	s_or_b64 exec, exec, s[8:9]
                                        ; implicit-def: $vgpr6
.LBB7_704:
	s_andn2_saveexec_b64 s[6:7], s[6:7]
; %bb.705:
	s_mov_b32 s8, 0x7f800000
	v_mov_b32_e32 v3, 0x7e
	v_mov_b32_e32 v7, 0x7f
	v_cmp_lt_u32_e32 vcc, s8, v6
	v_cndmask_b32_e32 v3, v3, v7, vcc
; %bb.706:
	s_or_b64 exec, exec, s[6:7]
	v_lshrrev_b32_e32 v2, 24, v2
	s_movk_i32 s6, 0x80
	v_and_or_b32 v2, v2, s6, v3
	global_store_byte v[4:5], v2, off
.LBB7_707:
	s_mov_b64 s[6:7], 0
.LBB7_708:
	s_andn2_b64 vcc, exec, s[6:7]
	s_cbranch_vccnz .LBB7_718
; %bb.709:
	v_cvt_f32_f64_e32 v2, v[0:1]
	s_mov_b32 s6, 0x47800000
                                        ; implicit-def: $vgpr3
	v_and_b32_e32 v6, 0x7fffffff, v2
	v_cmp_gt_u32_e32 vcc, s6, v6
	s_and_saveexec_b64 s[6:7], vcc
	s_xor_b64 s[6:7], exec, s[6:7]
	s_cbranch_execz .LBB7_715
; %bb.710:
	s_mov_b32 s8, 0x387fffff
	v_cmp_lt_u32_e32 vcc, s8, v6
                                        ; implicit-def: $vgpr3
	s_and_saveexec_b64 s[8:9], vcc
	s_xor_b64 s[8:9], exec, s[8:9]
; %bb.711:
	v_bfe_u32 v3, v2, 21, 1
	s_mov_b32 s10, 0x80fffff
	v_add3_u32 v3, v2, v3, s10
	v_lshrrev_b32_e32 v3, 21, v3
; %bb.712:
	s_andn2_saveexec_b64 s[8:9], s[8:9]
; %bb.713:
	s_mov_b32 s10, 0x43000000
	v_add_f32_e64 v3, |v2|, s10
; %bb.714:
	s_or_b64 exec, exec, s[8:9]
                                        ; implicit-def: $vgpr6
.LBB7_715:
	s_andn2_saveexec_b64 s[6:7], s[6:7]
; %bb.716:
	s_mov_b32 s8, 0x7f800000
	v_mov_b32_e32 v3, 0x7c
	v_mov_b32_e32 v7, 0x7f
	v_cmp_lt_u32_e32 vcc, s8, v6
	v_cndmask_b32_e32 v3, v3, v7, vcc
; %bb.717:
	s_or_b64 exec, exec, s[6:7]
	v_lshrrev_b32_e32 v2, 24, v2
	s_movk_i32 s6, 0x80
	v_and_or_b32 v2, v2, s6, v3
	global_store_byte v[4:5], v2, off
.LBB7_718:
	s_mov_b64 s[8:9], 0
	s_mov_b64 s[6:7], -1
.LBB7_719:
	s_andn2_b64 vcc, exec, s[8:9]
	s_cbranch_vccnz .LBB7_727
; %bb.720:
	s_cmp_gt_i32 s13, 14
	s_mov_b64 s[8:9], -1
	s_cbranch_scc0 .LBB7_724
; %bb.721:
	s_cmp_eq_u32 s13, 15
	s_mov_b64 s[4:5], -1
	s_cbranch_scc0 .LBB7_723
; %bb.722:
	v_cvt_f32_f64_e32 v2, v[0:1]
	s_movk_i32 s4, 0x7fff
	v_mov_b32_e32 v3, 0x7fc0
	s_mov_b64 s[6:7], -1
	v_bfe_u32 v6, v2, 16, 1
	v_cmp_o_f32_e32 vcc, v2, v2
	v_add3_u32 v2, v2, v6, s4
	v_cndmask_b32_sdwa v2, v3, v2, vcc dst_sel:DWORD dst_unused:UNUSED_PAD src0_sel:DWORD src1_sel:WORD_1
	global_store_short v[4:5], v2, off
	s_mov_b64 s[4:5], 0
.LBB7_723:
	s_mov_b64 s[8:9], 0
.LBB7_724:
	s_and_b64 vcc, exec, s[8:9]
	s_cbranch_vccz .LBB7_727
; %bb.725:
	s_cmp_eq_u32 s13, 11
	s_mov_b64 s[4:5], -1
	s_cbranch_scc0 .LBB7_727
; %bb.726:
	v_cmp_neq_f64_e32 vcc, 0, v[0:1]
	s_mov_b64 s[4:5], 0
	s_mov_b64 s[6:7], -1
	v_cndmask_b32_e64 v2, 0, 1, vcc
	global_store_byte v[4:5], v2, off
.LBB7_727:
	s_mov_b64 s[8:9], 0
.LBB7_728:
	s_and_b64 vcc, exec, s[8:9]
	s_cbranch_vccz .LBB7_767
; %bb.729:
	s_and_b32 s8, 0xffff, s12
	s_cmp_lt_i32 s8, 5
	s_mov_b64 s[6:7], -1
	s_cbranch_scc1 .LBB7_750
; %bb.730:
	s_cmp_lt_i32 s8, 8
	s_cbranch_scc1 .LBB7_740
; %bb.731:
	s_cmp_lt_i32 s8, 9
	s_cbranch_scc1 .LBB7_737
; %bb.732:
	s_cmp_gt_i32 s8, 9
	s_cbranch_scc0 .LBB7_734
; %bb.733:
	v_mov_b32_e32 v2, 0
	v_mov_b32_e32 v3, v2
	s_mov_b64 s[6:7], 0
	global_store_dwordx4 v[4:5], v[0:3], off
.LBB7_734:
	s_andn2_b64 vcc, exec, s[6:7]
	s_cbranch_vccnz .LBB7_736
; %bb.735:
	v_cvt_f32_f64_e32 v2, v[0:1]
	v_mov_b32_e32 v3, 0
	global_store_dwordx2 v[4:5], v[2:3], off
.LBB7_736:
	s_mov_b64 s[6:7], 0
.LBB7_737:
	s_andn2_b64 vcc, exec, s[6:7]
	s_cbranch_vccnz .LBB7_739
; %bb.738:
	s_movk_i32 s6, 0x1ff
	v_and_or_b32 v2, v1, s6, v0
	v_cmp_ne_u32_e32 vcc, 0, v2
	v_cndmask_b32_e64 v2, 0, 1, vcc
	v_lshrrev_b32_e32 v3, 8, v1
	s_movk_i32 s6, 0xffe
	v_bfe_u32 v6, v1, 20, 11
	v_and_or_b32 v2, v3, s6, v2
	v_sub_u32_e32 v7, 0x3f1, v6
	v_or_b32_e32 v3, 0x1000, v2
	v_med3_i32 v7, v7, 0, 13
	v_lshrrev_b32_e32 v8, v7, v3
	v_lshlrev_b32_e32 v7, v7, v8
	v_cmp_ne_u32_e32 vcc, v7, v3
	v_cndmask_b32_e64 v3, 0, 1, vcc
	v_add_u32_e32 v6, 0xfffffc10, v6
	v_or_b32_e32 v3, v8, v3
	v_lshl_or_b32 v7, v6, 12, v2
	v_cmp_gt_i32_e32 vcc, 1, v6
	v_cndmask_b32_e32 v3, v7, v3, vcc
	v_and_b32_e32 v7, 7, v3
	v_cmp_lt_i32_e32 vcc, 5, v7
	v_cndmask_b32_e64 v8, 0, 1, vcc
	v_cmp_eq_u32_e32 vcc, 3, v7
	v_cndmask_b32_e64 v7, 0, 1, vcc
	v_or_b32_e32 v7, v7, v8
	v_lshrrev_b32_e32 v3, 2, v3
	v_add_u32_e32 v3, v3, v7
	v_mov_b32_e32 v7, 0x7c00
	v_cmp_gt_i32_e32 vcc, 31, v6
	v_cndmask_b32_e32 v3, v7, v3, vcc
	v_mov_b32_e32 v8, 0x7e00
	v_cmp_ne_u32_e32 vcc, 0, v2
	s_movk_i32 s6, 0x40f
	v_cndmask_b32_e32 v2, v7, v8, vcc
	v_cmp_eq_u32_e32 vcc, s6, v6
	v_cndmask_b32_e32 v2, v3, v2, vcc
	v_lshrrev_b32_e32 v3, 16, v1
	s_mov_b32 s6, 0x8000
	v_and_or_b32 v2, v3, s6, v2
	v_and_b32_e32 v2, 0xffff, v2
	global_store_dword v[4:5], v2, off
.LBB7_739:
	s_mov_b64 s[6:7], 0
.LBB7_740:
	s_andn2_b64 vcc, exec, s[6:7]
	s_cbranch_vccnz .LBB7_749
; %bb.741:
	s_cmp_lt_i32 s8, 6
	s_mov_b64 s[6:7], -1
	s_cbranch_scc1 .LBB7_747
; %bb.742:
	s_cmp_gt_i32 s8, 6
	s_cbranch_scc0 .LBB7_744
; %bb.743:
	s_mov_b64 s[6:7], 0
	global_store_dwordx2 v[4:5], v[0:1], off
.LBB7_744:
	s_andn2_b64 vcc, exec, s[6:7]
	s_cbranch_vccnz .LBB7_746
; %bb.745:
	v_cvt_f32_f64_e32 v2, v[0:1]
	global_store_dword v[4:5], v2, off
.LBB7_746:
	s_mov_b64 s[6:7], 0
.LBB7_747:
	s_andn2_b64 vcc, exec, s[6:7]
	s_cbranch_vccnz .LBB7_749
; %bb.748:
	s_movk_i32 s6, 0x1ff
	v_and_or_b32 v2, v1, s6, v0
	v_cmp_ne_u32_e32 vcc, 0, v2
	v_cndmask_b32_e64 v2, 0, 1, vcc
	v_lshrrev_b32_e32 v3, 8, v1
	s_movk_i32 s6, 0xffe
	v_bfe_u32 v6, v1, 20, 11
	v_and_or_b32 v2, v3, s6, v2
	v_sub_u32_e32 v7, 0x3f1, v6
	v_or_b32_e32 v3, 0x1000, v2
	v_med3_i32 v7, v7, 0, 13
	v_lshrrev_b32_e32 v8, v7, v3
	v_lshlrev_b32_e32 v7, v7, v8
	v_cmp_ne_u32_e32 vcc, v7, v3
	v_cndmask_b32_e64 v3, 0, 1, vcc
	v_add_u32_e32 v6, 0xfffffc10, v6
	v_or_b32_e32 v3, v8, v3
	v_lshl_or_b32 v7, v6, 12, v2
	v_cmp_gt_i32_e32 vcc, 1, v6
	v_cndmask_b32_e32 v3, v7, v3, vcc
	v_and_b32_e32 v7, 7, v3
	v_cmp_lt_i32_e32 vcc, 5, v7
	v_cndmask_b32_e64 v8, 0, 1, vcc
	v_cmp_eq_u32_e32 vcc, 3, v7
	v_cndmask_b32_e64 v7, 0, 1, vcc
	v_or_b32_e32 v7, v7, v8
	v_lshrrev_b32_e32 v3, 2, v3
	v_add_u32_e32 v3, v3, v7
	v_mov_b32_e32 v7, 0x7c00
	v_cmp_gt_i32_e32 vcc, 31, v6
	v_cndmask_b32_e32 v3, v7, v3, vcc
	v_mov_b32_e32 v8, 0x7e00
	v_cmp_ne_u32_e32 vcc, 0, v2
	s_movk_i32 s6, 0x40f
	v_cndmask_b32_e32 v2, v7, v8, vcc
	v_cmp_eq_u32_e32 vcc, s6, v6
	v_cndmask_b32_e32 v2, v3, v2, vcc
	v_lshrrev_b32_e32 v3, 16, v1
	s_mov_b32 s6, 0x8000
	v_and_or_b32 v2, v3, s6, v2
	global_store_short v[4:5], v2, off
.LBB7_749:
	s_mov_b64 s[6:7], 0
.LBB7_750:
	s_andn2_b64 vcc, exec, s[6:7]
	s_cbranch_vccnz .LBB7_766
; %bb.751:
	s_cmp_lt_i32 s8, 2
	s_mov_b64 s[6:7], -1
	s_cbranch_scc1 .LBB7_761
; %bb.752:
	s_cmp_lt_i32 s8, 3
	s_cbranch_scc1 .LBB7_758
; %bb.753:
	s_cmp_gt_i32 s8, 3
	s_cbranch_scc0 .LBB7_755
; %bb.754:
	v_trunc_f64_e32 v[2:3], v[0:1]
	s_movk_i32 s6, 0xffe0
	v_ldexp_f64 v[6:7], v[2:3], s6
	s_mov_b32 s6, 0
	s_mov_b32 s7, 0xc1f00000
	v_floor_f64_e32 v[6:7], v[6:7]
	v_fma_f64 v[2:3], v[6:7], s[6:7], v[2:3]
	v_cvt_i32_f64_e32 v7, v[6:7]
	s_mov_b64 s[6:7], 0
	v_cvt_u32_f64_e32 v6, v[2:3]
	global_store_dwordx2 v[4:5], v[6:7], off
.LBB7_755:
	s_andn2_b64 vcc, exec, s[6:7]
	s_cbranch_vccnz .LBB7_757
; %bb.756:
	v_cvt_i32_f64_e32 v2, v[0:1]
	global_store_dword v[4:5], v2, off
.LBB7_757:
	s_mov_b64 s[6:7], 0
.LBB7_758:
	s_andn2_b64 vcc, exec, s[6:7]
	s_cbranch_vccnz .LBB7_760
; %bb.759:
	v_cvt_i32_f64_e32 v2, v[0:1]
	global_store_short v[4:5], v2, off
.LBB7_760:
	s_mov_b64 s[6:7], 0
.LBB7_761:
	s_andn2_b64 vcc, exec, s[6:7]
	s_cbranch_vccnz .LBB7_766
; %bb.762:
	s_cmp_gt_i32 s8, 0
	s_mov_b64 s[6:7], -1
	s_cbranch_scc0 .LBB7_764
; %bb.763:
	v_cvt_i32_f64_e32 v2, v[0:1]
	s_mov_b64 s[6:7], 0
	global_store_byte v[4:5], v2, off
.LBB7_764:
	s_andn2_b64 vcc, exec, s[6:7]
	s_cbranch_vccnz .LBB7_766
; %bb.765:
	v_trunc_f64_e32 v[0:1], v[0:1]
	s_movk_i32 s6, 0xffe0
	v_ldexp_f64 v[2:3], v[0:1], s6
	s_mov_b32 s6, 0
	s_mov_b32 s7, 0xc1f00000
	v_floor_f64_e32 v[2:3], v[2:3]
	v_fma_f64 v[0:1], v[2:3], s[6:7], v[0:1]
	v_cvt_u32_f64_e32 v0, v[0:1]
	global_store_byte v[4:5], v0, off
.LBB7_766:
	s_mov_b64 s[6:7], -1
.LBB7_767:
	s_andn2_b64 vcc, exec, s[6:7]
	s_cbranch_vccnz .LBB7_769
; %bb.768:
	v_add_u32_e32 v44, 0x80, v44
	s_mov_b64 s[8:9], -1
	s_branch .LBB7_770
.LBB7_769:
	s_mov_b64 s[8:9], 0
                                        ; implicit-def: $vgpr44
.LBB7_770:
	s_andn2_b64 s[6:7], s[56:57], exec
	s_and_b64 s[4:5], s[4:5], exec
	s_or_b64 s[6:7], s[6:7], s[4:5]
	s_andn2_b64 s[4:5], s[54:55], exec
	s_and_b64 s[10:11], s[62:63], exec
	s_or_b64 s[4:5], s[4:5], s[10:11]
	s_orn2_b64 s[14:15], s[8:9], exec
.LBB7_771:
	s_or_b64 exec, exec, s[60:61]
	s_mov_b64 s[12:13], 0
	s_mov_b64 s[16:17], 0
	;; [unrolled: 1-line block ×3, first 2 shown]
                                        ; implicit-def: $vgpr0_vgpr1
                                        ; implicit-def: $vgpr2_vgpr3
	s_and_saveexec_b64 s[8:9], s[14:15]
	s_cbranch_execz .LBB7_856
; %bb.772:
	v_cmp_gt_i32_e32 vcc, s65, v44
	s_mov_b64 s[14:15], 0
	s_mov_b64 s[18:19], s[4:5]
	;; [unrolled: 1-line block ×3, first 2 shown]
                                        ; implicit-def: $vgpr0_vgpr1
                                        ; implicit-def: $vgpr2_vgpr3
	s_and_saveexec_b64 s[10:11], vcc
	s_cbranch_execz .LBB7_855
; %bb.773:
	s_waitcnt vmcnt(0)
	v_mul_lo_u32 v0, v44, s35
	v_mov_b32_e32 v1, s39
	s_and_b32 s22, 0xffff, s64
	s_cmp_lt_i32 s22, 11
	v_ashrrev_i32_e32 v2, 31, v0
	v_add_co_u32_e32 v0, vcc, s38, v0
	v_addc_co_u32_e32 v1, vcc, v1, v2, vcc
	s_cbranch_scc1 .LBB7_780
; %bb.774:
	s_cmp_gt_i32 s22, 25
	s_cbranch_scc0 .LBB7_781
; %bb.775:
	s_cmp_gt_i32 s22, 28
	s_cbranch_scc0 .LBB7_782
; %bb.776:
	s_cmp_gt_i32 s22, 43
	s_cbranch_scc0 .LBB7_783
; %bb.777:
	s_cmp_gt_i32 s22, 45
	s_cbranch_scc0 .LBB7_786
; %bb.778:
	s_cmp_eq_u32 s22, 46
	s_mov_b64 s[18:19], 0
	s_cbranch_scc0 .LBB7_789
; %bb.779:
	global_load_dword v2, v[0:1], off
	s_mov_b64 s[16:17], -1
	s_waitcnt vmcnt(0)
	v_lshlrev_b32_e32 v2, 16, v2
	v_cvt_f64_f32_e32 v[2:3], v2
	s_branch .LBB7_791
.LBB7_780:
	s_mov_b64 s[18:19], -1
                                        ; implicit-def: $vgpr2_vgpr3
	s_mov_b64 s[12:13], s[4:5]
	s_branch .LBB7_854
.LBB7_781:
	s_mov_b64 s[18:19], -1
	s_mov_b64 s[12:13], s[4:5]
                                        ; implicit-def: $vgpr2_vgpr3
	s_branch .LBB7_822
.LBB7_782:
	s_mov_b64 s[18:19], -1
	s_mov_b64 s[12:13], s[4:5]
                                        ; implicit-def: $vgpr2_vgpr3
	s_branch .LBB7_801
.LBB7_783:
	s_mov_b64 s[18:19], -1
	s_mov_b64 s[12:13], s[4:5]
                                        ; implicit-def: $vgpr2_vgpr3
	s_branch .LBB7_796
.LBB7_784:
	s_andn2_saveexec_b64 s[10:11], s[10:11]
	s_cbranch_execz .LBB7_680
.LBB7_785:
	s_mov_b32 s14, 0x46000000
	v_add_f32_e64 v3, |v2|, s14
	v_and_b32_e32 v3, 0xff, v3
	v_cmp_ne_u32_e32 vcc, 0, v3
	s_andn2_b64 s[8:9], s[8:9], exec
	s_and_b64 s[14:15], vcc, exec
	s_or_b64 s[8:9], s[8:9], s[14:15]
	s_or_b64 exec, exec, s[10:11]
	v_mov_b32_e32 v6, 0
	s_and_saveexec_b64 s[10:11], s[8:9]
	s_cbranch_execnz .LBB7_681
	s_branch .LBB7_682
.LBB7_786:
	s_mov_b64 s[18:19], -1
	s_mov_b64 s[12:13], s[4:5]
	s_branch .LBB7_790
.LBB7_787:
	s_andn2_saveexec_b64 s[10:11], s[10:11]
	s_cbranch_execz .LBB7_693
.LBB7_788:
	s_mov_b32 s14, 0x42800000
	v_add_f32_e64 v3, |v2|, s14
	v_and_b32_e32 v3, 0xff, v3
	v_cmp_ne_u32_e32 vcc, 0, v3
	s_andn2_b64 s[8:9], s[8:9], exec
	s_and_b64 s[14:15], vcc, exec
	s_or_b64 s[8:9], s[8:9], s[14:15]
	s_or_b64 exec, exec, s[10:11]
	v_mov_b32_e32 v6, 0
	s_and_saveexec_b64 s[10:11], s[8:9]
	s_cbranch_execnz .LBB7_694
	s_branch .LBB7_695
.LBB7_789:
	s_mov_b64 s[12:13], -1
.LBB7_790:
                                        ; implicit-def: $vgpr2_vgpr3
.LBB7_791:
	s_and_b64 vcc, exec, s[18:19]
	s_cbranch_vccz .LBB7_795
; %bb.792:
	s_cmp_eq_u32 s22, 44
	s_cbranch_scc0 .LBB7_794
; %bb.793:
	global_load_ubyte v4, v[0:1], off
	s_movk_i32 s16, 0xff
	v_bfrev_b32_e32 v5, 4
	v_mov_b32_e32 v6, 0x7ff80000
	v_bfrev_b32_e32 v7, 28
	s_mov_b64 s[12:13], 0
	s_waitcnt vmcnt(0)
	v_lshlrev_b32_e32 v2, 23, v4
	v_cvt_f64_f32_e32 v[2:3], v2
	v_cmp_ne_u32_e32 vcc, s16, v4
	s_mov_b64 s[16:17], -1
	v_cndmask_b32_e32 v2, v5, v2, vcc
	v_cndmask_b32_e32 v3, v6, v3, vcc
	v_cmp_ne_u32_e32 vcc, 0, v4
	v_cndmask_b32_e32 v3, v7, v3, vcc
	v_cndmask_b32_e32 v2, 0, v2, vcc
	s_branch .LBB7_795
.LBB7_794:
	s_mov_b64 s[12:13], -1
                                        ; implicit-def: $vgpr2_vgpr3
.LBB7_795:
	s_mov_b64 s[18:19], 0
.LBB7_796:
	s_and_b64 vcc, exec, s[18:19]
	s_cbranch_vccz .LBB7_800
; %bb.797:
	s_cmp_eq_u32 s22, 29
	s_cbranch_scc0 .LBB7_799
; %bb.798:
	global_load_dwordx2 v[2:3], v[0:1], off
	s_mov_b64 s[12:13], 0
	s_mov_b64 s[16:17], -1
	s_mov_b64 s[18:19], 0
	s_waitcnt vmcnt(0)
	v_cvt_f64_u32_e32 v[3:4], v3
	v_cvt_f64_u32_e32 v[5:6], v2
	v_ldexp_f64 v[3:4], v[3:4], 32
	v_add_f64 v[2:3], v[3:4], v[5:6]
	s_branch .LBB7_801
.LBB7_799:
	s_mov_b64 s[12:13], -1
                                        ; implicit-def: $vgpr2_vgpr3
.LBB7_800:
	s_mov_b64 s[18:19], 0
.LBB7_801:
	s_and_b64 vcc, exec, s[18:19]
	s_cbranch_vccz .LBB7_821
; %bb.802:
	s_cmp_lt_i32 s22, 27
	s_cbranch_scc1 .LBB7_805
; %bb.803:
	s_cmp_gt_i32 s22, 27
	s_cbranch_scc0 .LBB7_806
; %bb.804:
	global_load_dword v2, v[0:1], off
	s_mov_b64 s[16:17], 0
	s_waitcnt vmcnt(0)
	v_cvt_f64_u32_e32 v[2:3], v2
	s_branch .LBB7_807
.LBB7_805:
	s_mov_b64 s[16:17], -1
                                        ; implicit-def: $vgpr2_vgpr3
	s_branch .LBB7_810
.LBB7_806:
	s_mov_b64 s[16:17], -1
                                        ; implicit-def: $vgpr2_vgpr3
.LBB7_807:
	s_andn2_b64 vcc, exec, s[16:17]
	s_cbranch_vccnz .LBB7_809
; %bb.808:
	global_load_ushort v2, v[0:1], off
	s_waitcnt vmcnt(0)
	v_cvt_f64_u32_e32 v[2:3], v2
.LBB7_809:
	s_mov_b64 s[16:17], 0
.LBB7_810:
	s_andn2_b64 vcc, exec, s[16:17]
	s_cbranch_vccnz .LBB7_820
; %bb.811:
	global_load_ubyte v4, v[0:1], off
	s_movk_i32 s16, 0x7f
	s_waitcnt vmcnt(0)
	v_cmp_lt_i16_e32 vcc, s16, v4
	s_mov_b64 s[16:17], 0
	s_and_saveexec_b64 s[18:19], vcc
	s_xor_b64 s[18:19], exec, s[18:19]
	s_cbranch_execz .LBB7_815
; %bb.812:
	s_movk_i32 s16, 0x80
	v_cmp_eq_u16_e32 vcc, s16, v4
	s_mov_b64 s[16:17], -1
	s_and_saveexec_b64 s[20:21], vcc
; %bb.813:
	s_xor_b64 s[16:17], exec, -1
; %bb.814:
	s_or_b64 exec, exec, s[20:21]
	s_and_b64 s[16:17], s[16:17], exec
.LBB7_815:
	s_or_saveexec_b64 s[18:19], s[18:19]
	v_bfrev_b32_e32 v2, 4
	v_mov_b32_e32 v3, 0x7ff80000
	s_xor_b64 exec, exec, s[18:19]
; %bb.816:
	v_cmp_ne_u16_e32 vcc, 0, v4
	v_mov_b32_e32 v2, 0
	s_andn2_b64 s[16:17], s[16:17], exec
	s_and_b64 s[20:21], vcc, exec
	v_mov_b32_e32 v3, 0
	s_or_b64 s[16:17], s[16:17], s[20:21]
; %bb.817:
	s_or_b64 exec, exec, s[18:19]
	s_and_saveexec_b64 s[18:19], s[16:17]
	s_cbranch_execz .LBB7_819
; %bb.818:
	v_and_b32_e32 v3, 0xffff, v4
	v_lshlrev_b32_e32 v2, 24, v4
	v_and_b32_e32 v4, 7, v3
	v_ffbh_u32_e32 v6, v4
	v_min_u32_e32 v6, 32, v6
	v_subrev_u32_e32 v7, 28, v6
	v_bfe_u32 v5, v3, 3, 4
	v_lshlrev_b32_e32 v3, v7, v3
	v_sub_u32_e32 v6, 29, v6
	v_and_b32_e32 v3, 7, v3
	v_cmp_eq_u32_e32 vcc, 0, v5
	v_cndmask_b32_e32 v5, v5, v6, vcc
	v_cndmask_b32_e32 v3, v4, v3, vcc
	v_mov_b32_e32 v4, 0x3b800000
	v_lshlrev_b32_e32 v3, 20, v3
	v_and_b32_e32 v2, 0x80000000, v2
	v_lshl_add_u32 v4, v5, 23, v4
	v_or3_b32 v2, v2, v4, v3
	v_cvt_f64_f32_e32 v[2:3], v2
.LBB7_819:
	s_or_b64 exec, exec, s[18:19]
.LBB7_820:
	s_mov_b64 s[16:17], -1
.LBB7_821:
	s_mov_b64 s[18:19], 0
.LBB7_822:
	s_and_b64 vcc, exec, s[18:19]
	s_cbranch_vccz .LBB7_853
; %bb.823:
	s_cmp_gt_i32 s22, 22
	s_cbranch_scc0 .LBB7_835
; %bb.824:
	s_cmp_lt_i32 s22, 24
	s_cbranch_scc1 .LBB7_836
; %bb.825:
	s_cmp_gt_i32 s22, 24
	s_cbranch_scc0 .LBB7_837
; %bb.826:
	global_load_ubyte v4, v[0:1], off
	s_movk_i32 s14, 0x7f
	s_waitcnt vmcnt(0)
	v_cmp_lt_i16_e32 vcc, s14, v4
	s_mov_b64 s[14:15], 0
	s_and_saveexec_b64 s[16:17], vcc
	s_xor_b64 s[16:17], exec, s[16:17]
	s_cbranch_execz .LBB7_830
; %bb.827:
	s_movk_i32 s14, 0x80
	v_cmp_eq_u16_e32 vcc, s14, v4
	s_mov_b64 s[14:15], -1
	s_and_saveexec_b64 s[18:19], vcc
; %bb.828:
	s_xor_b64 s[14:15], exec, -1
; %bb.829:
	s_or_b64 exec, exec, s[18:19]
	s_and_b64 s[14:15], s[14:15], exec
.LBB7_830:
	s_or_saveexec_b64 s[16:17], s[16:17]
	v_bfrev_b32_e32 v2, 4
	v_mov_b32_e32 v3, 0x7ff80000
	s_xor_b64 exec, exec, s[16:17]
; %bb.831:
	v_cmp_ne_u16_e32 vcc, 0, v4
	v_mov_b32_e32 v2, 0
	s_andn2_b64 s[14:15], s[14:15], exec
	s_and_b64 s[18:19], vcc, exec
	v_mov_b32_e32 v3, 0
	s_or_b64 s[14:15], s[14:15], s[18:19]
; %bb.832:
	s_or_b64 exec, exec, s[16:17]
	s_and_saveexec_b64 s[16:17], s[14:15]
	s_cbranch_execz .LBB7_834
; %bb.833:
	v_and_b32_e32 v3, 0xffff, v4
	v_lshlrev_b32_e32 v2, 24, v4
	v_and_b32_e32 v4, 3, v3
	v_ffbh_u32_e32 v6, v4
	v_min_u32_e32 v6, 32, v6
	v_subrev_u32_e32 v7, 29, v6
	v_bfe_u32 v5, v3, 2, 5
	v_lshlrev_b32_e32 v3, v7, v3
	v_sub_u32_e32 v6, 30, v6
	v_and_b32_e32 v3, 3, v3
	v_cmp_eq_u32_e32 vcc, 0, v5
	v_cndmask_b32_e32 v5, v5, v6, vcc
	v_cndmask_b32_e32 v3, v4, v3, vcc
	v_mov_b32_e32 v4, 0x37800000
	v_lshlrev_b32_e32 v3, 21, v3
	v_and_b32_e32 v2, 0x80000000, v2
	v_lshl_add_u32 v4, v5, 23, v4
	v_or3_b32 v2, v2, v4, v3
	v_cvt_f64_f32_e32 v[2:3], v2
.LBB7_834:
	s_or_b64 exec, exec, s[16:17]
	s_mov_b64 s[14:15], 0
	s_branch .LBB7_838
.LBB7_835:
	s_mov_b64 s[14:15], -1
                                        ; implicit-def: $vgpr2_vgpr3
	s_branch .LBB7_844
.LBB7_836:
	s_mov_b64 s[14:15], -1
                                        ; implicit-def: $vgpr2_vgpr3
	s_branch .LBB7_841
.LBB7_837:
	s_mov_b64 s[14:15], -1
                                        ; implicit-def: $vgpr2_vgpr3
.LBB7_838:
	s_and_b64 vcc, exec, s[14:15]
	s_cbranch_vccz .LBB7_840
; %bb.839:
	global_load_ubyte v2, v[0:1], off
	s_mov_b32 s14, 0x7f800000
	s_waitcnt vmcnt(0)
	v_lshlrev_b32_e32 v2, 24, v2
	v_and_b32_e32 v3, 0x7f000000, v2
	v_ffbh_u32_e32 v4, v3
	v_min_u32_e32 v4, 32, v4
	v_sub_u32_e64 v4, v4, 4 clamp
	v_lshlrev_b32_e32 v6, v4, v3
	v_lshlrev_b32_e32 v4, 23, v4
	v_lshrrev_b32_e32 v6, 4, v6
	v_add_u32_e32 v5, 0x1000000, v3
	v_sub_u32_e32 v4, v6, v4
	v_ashrrev_i32_e32 v5, 8, v5
	v_add_u32_e32 v4, 0x3c000000, v4
	v_and_or_b32 v4, v5, s14, v4
	v_cmp_ne_u32_e32 vcc, 0, v3
	v_cndmask_b32_e32 v3, 0, v4, vcc
	s_brev_b32 s14, 1
	v_and_or_b32 v2, v2, s14, v3
	v_cvt_f64_f32_e32 v[2:3], v2
.LBB7_840:
	s_mov_b64 s[14:15], 0
.LBB7_841:
	s_andn2_b64 vcc, exec, s[14:15]
	s_cbranch_vccnz .LBB7_843
; %bb.842:
	global_load_ubyte v2, v[0:1], off
	s_movk_i32 s14, 0x7f00
	s_brev_b32 s15, 16
	s_waitcnt vmcnt(0)
	v_lshlrev_b16_e32 v3, 8, v2
	v_lshlrev_b32_e32 v2, 25, v2
	v_lshrrev_b32_e32 v4, 4, v2
	v_and_or_b32 v5, v3, s14, 0.5
	v_or_b32_e32 v4, 0x70000000, v4
	v_add_f32_e32 v5, -0.5, v5
	v_mul_f32_e32 v4, 0x7800000, v4
	v_cmp_gt_u32_e32 vcc, s15, v2
	v_bfe_i32 v3, v3, 0, 16
	v_cndmask_b32_e32 v2, v4, v5, vcc
	s_brev_b32 s14, 1
	v_and_or_b32 v2, v3, s14, v2
	v_cvt_f64_f32_e32 v[2:3], v2
.LBB7_843:
	s_mov_b64 s[14:15], 0
	s_mov_b64 s[16:17], -1
.LBB7_844:
	s_andn2_b64 vcc, exec, s[14:15]
	s_mov_b64 s[14:15], 0
	s_cbranch_vccnz .LBB7_853
; %bb.845:
	s_cmp_gt_i32 s22, 14
	s_cbranch_scc0 .LBB7_848
; %bb.846:
	s_cmp_eq_u32 s22, 15
	s_cbranch_scc0 .LBB7_849
; %bb.847:
	global_load_ushort v2, v[0:1], off
	s_mov_b64 s[12:13], 0
	s_mov_b64 s[16:17], -1
	s_waitcnt vmcnt(0)
	v_lshlrev_b32_e32 v2, 16, v2
	v_cvt_f64_f32_e32 v[2:3], v2
	s_branch .LBB7_850
.LBB7_848:
	s_mov_b64 s[18:19], -1
                                        ; implicit-def: $vgpr2_vgpr3
	s_branch .LBB7_851
.LBB7_849:
	s_mov_b64 s[12:13], -1
                                        ; implicit-def: $vgpr2_vgpr3
.LBB7_850:
	s_mov_b64 s[18:19], 0
.LBB7_851:
	s_and_b64 vcc, exec, s[18:19]
	s_cbranch_vccz .LBB7_853
; %bb.852:
	s_cmp_lg_u32 s22, 11
	s_cselect_b64 s[18:19], -1, 0
	s_andn2_b64 s[12:13], s[12:13], exec
	s_and_b64 s[18:19], s[18:19], exec
	s_mov_b64 s[14:15], -1
	s_or_b64 s[12:13], s[12:13], s[18:19]
.LBB7_853:
	s_mov_b64 s[18:19], 0
.LBB7_854:
	s_and_b64 s[20:21], s[16:17], exec
	s_and_b64 s[16:17], s[18:19], exec
	s_andn2_b64 s[18:19], s[4:5], exec
	s_and_b64 s[12:13], s[12:13], exec
	s_and_b64 s[14:15], s[14:15], exec
	s_or_b64 s[18:19], s[18:19], s[12:13]
.LBB7_855:
	s_or_b64 exec, exec, s[10:11]
	s_and_b64 s[12:13], s[14:15], exec
	s_andn2_b64 s[4:5], s[4:5], exec
	s_and_b64 s[14:15], s[18:19], exec
	s_and_b64 s[10:11], s[20:21], exec
	;; [unrolled: 1-line block ×3, first 2 shown]
	s_or_b64 s[4:5], s[4:5], s[14:15]
.LBB7_856:
	s_or_b64 exec, exec, s[8:9]
	s_andn2_b64 s[8:9], s[56:57], exec
	s_and_b64 s[6:7], s[6:7], exec
	s_or_b64 s[56:57], s[8:9], s[6:7]
	s_and_b64 s[6:7], s[12:13], exec
	s_andn2_b64 s[12:13], s[54:55], exec
	s_and_b64 s[4:5], s[4:5], exec
	s_and_b64 s[10:11], s[10:11], exec
	;; [unrolled: 1-line block ×3, first 2 shown]
	s_or_b64 s[54:55], s[12:13], s[4:5]
.LBB7_857:
	s_or_b64 exec, exec, s[58:59]
	s_andn2_b64 s[4:5], s[48:49], exec
	s_and_b64 s[12:13], s[56:57], exec
	s_or_b64 s[48:49], s[4:5], s[12:13]
	s_and_b64 s[4:5], s[10:11], exec
	s_and_b64 s[56:57], s[6:7], exec
	s_andn2_b64 s[6:7], s[50:51], exec
	s_and_b64 s[10:11], s[54:55], exec
	s_and_b64 s[8:9], s[8:9], exec
	s_or_b64 s[50:51], s[6:7], s[10:11]
	s_or_b64 exec, exec, s[52:53]
	s_mov_b64 s[52:53], 0
	s_and_saveexec_b64 s[6:7], s[50:51]
	s_cbranch_execz .LBB7_261
.LBB7_858:
	s_mov_b64 s[52:53], exec
	s_andn2_b64 s[56:57], s[56:57], exec
	s_trap 2
	s_or_b64 exec, exec, s[6:7]
	s_and_saveexec_b64 s[6:7], s[56:57]
	s_xor_b64 s[6:7], exec, s[6:7]
	s_cbranch_execnz .LBB7_262
.LBB7_859:
	s_or_b64 exec, exec, s[6:7]
	s_and_saveexec_b64 s[6:7], s[8:9]
	s_cbranch_execz .LBB7_905
.LBB7_860:
	s_sext_i32_i16 s8, s64
	s_cmp_lt_i32 s8, 5
	s_cbranch_scc1 .LBB7_865
; %bb.861:
	s_cmp_lt_i32 s8, 8
	s_cbranch_scc1 .LBB7_866
; %bb.862:
	;; [unrolled: 3-line block ×3, first 2 shown]
	s_cmp_gt_i32 s8, 9
	s_cbranch_scc0 .LBB7_868
; %bb.864:
	s_waitcnt vmcnt(0)
	global_load_dwordx2 v[2:3], v[0:1], off
	s_mov_b64 s[8:9], 0
	s_branch .LBB7_869
.LBB7_865:
                                        ; implicit-def: $vgpr2_vgpr3
	s_branch .LBB7_886
.LBB7_866:
                                        ; implicit-def: $vgpr2_vgpr3
	s_branch .LBB7_875
.LBB7_867:
	s_mov_b64 s[8:9], -1
                                        ; implicit-def: $vgpr2_vgpr3
	s_branch .LBB7_872
.LBB7_868:
	s_mov_b64 s[8:9], -1
                                        ; implicit-def: $vgpr2_vgpr3
.LBB7_869:
	s_andn2_b64 vcc, exec, s[8:9]
	s_cbranch_vccnz .LBB7_871
; %bb.870:
	s_waitcnt vmcnt(0)
	global_load_dword v2, v[0:1], off
	s_waitcnt vmcnt(0)
	v_cvt_f64_f32_e32 v[2:3], v2
.LBB7_871:
	s_mov_b64 s[8:9], 0
.LBB7_872:
	s_andn2_b64 vcc, exec, s[8:9]
	s_cbranch_vccnz .LBB7_874
; %bb.873:
	s_waitcnt vmcnt(0)
	global_load_dword v2, v[0:1], off
	s_waitcnt vmcnt(0)
	v_cvt_f32_f16_e32 v2, v2
	v_cvt_f64_f32_e32 v[2:3], v2
.LBB7_874:
	s_cbranch_execnz .LBB7_885
.LBB7_875:
	s_sext_i32_i16 s8, s64
	s_cmp_lt_i32 s8, 6
	s_cbranch_scc1 .LBB7_878
; %bb.876:
	s_cmp_gt_i32 s8, 6
	s_cbranch_scc0 .LBB7_879
; %bb.877:
	s_waitcnt vmcnt(0)
	global_load_dwordx2 v[2:3], v[0:1], off
	s_mov_b64 s[8:9], 0
	s_branch .LBB7_880
.LBB7_878:
	s_mov_b64 s[8:9], -1
                                        ; implicit-def: $vgpr2_vgpr3
	s_branch .LBB7_883
.LBB7_879:
	s_mov_b64 s[8:9], -1
                                        ; implicit-def: $vgpr2_vgpr3
.LBB7_880:
	s_andn2_b64 vcc, exec, s[8:9]
	s_cbranch_vccnz .LBB7_882
; %bb.881:
	s_waitcnt vmcnt(0)
	global_load_dword v2, v[0:1], off
	s_waitcnt vmcnt(0)
	v_cvt_f64_f32_e32 v[2:3], v2
.LBB7_882:
	s_mov_b64 s[8:9], 0
.LBB7_883:
	s_andn2_b64 vcc, exec, s[8:9]
	s_cbranch_vccnz .LBB7_885
; %bb.884:
	s_waitcnt vmcnt(0)
	global_load_ushort v2, v[0:1], off
	s_waitcnt vmcnt(0)
	v_cvt_f32_f16_e32 v2, v2
	v_cvt_f64_f32_e32 v[2:3], v2
.LBB7_885:
	s_cbranch_execnz .LBB7_904
.LBB7_886:
	s_sext_i32_i16 s8, s64
	s_cmp_lt_i32 s8, 2
	s_cbranch_scc1 .LBB7_890
; %bb.887:
	s_cmp_lt_i32 s8, 3
	s_cbranch_scc1 .LBB7_891
; %bb.888:
	s_cmp_gt_i32 s8, 3
	s_cbranch_scc0 .LBB7_892
; %bb.889:
	s_waitcnt vmcnt(0)
	global_load_dwordx2 v[2:3], v[0:1], off
	s_mov_b64 s[8:9], 0
	s_waitcnt vmcnt(0)
	v_cvt_f64_i32_e32 v[3:4], v3
	v_cvt_f64_u32_e32 v[5:6], v2
	v_ldexp_f64 v[3:4], v[3:4], 32
	v_add_f64 v[2:3], v[3:4], v[5:6]
	s_branch .LBB7_893
.LBB7_890:
                                        ; implicit-def: $vgpr2_vgpr3
	s_branch .LBB7_899
.LBB7_891:
	s_mov_b64 s[8:9], -1
                                        ; implicit-def: $vgpr2_vgpr3
	s_branch .LBB7_896
.LBB7_892:
	s_mov_b64 s[8:9], -1
                                        ; implicit-def: $vgpr2_vgpr3
.LBB7_893:
	s_andn2_b64 vcc, exec, s[8:9]
	s_cbranch_vccnz .LBB7_895
; %bb.894:
	s_waitcnt vmcnt(0)
	global_load_dword v2, v[0:1], off
	s_waitcnt vmcnt(0)
	v_cvt_f64_i32_e32 v[2:3], v2
.LBB7_895:
	s_mov_b64 s[8:9], 0
.LBB7_896:
	s_andn2_b64 vcc, exec, s[8:9]
	s_cbranch_vccnz .LBB7_898
; %bb.897:
	s_waitcnt vmcnt(0)
	global_load_sshort v2, v[0:1], off
	s_waitcnt vmcnt(0)
	v_cvt_f64_i32_e32 v[2:3], v2
.LBB7_898:
	s_cbranch_execnz .LBB7_904
.LBB7_899:
	s_sext_i32_i16 s8, s64
	s_cmp_gt_i32 s8, 0
	s_cbranch_scc0 .LBB7_901
; %bb.900:
	s_waitcnt vmcnt(0)
	global_load_sbyte v2, v[0:1], off
	s_mov_b64 s[8:9], 0
	s_waitcnt vmcnt(0)
	v_cvt_f64_i32_e32 v[2:3], v2
	s_branch .LBB7_902
.LBB7_901:
	s_mov_b64 s[8:9], -1
                                        ; implicit-def: $vgpr2_vgpr3
.LBB7_902:
	s_andn2_b64 vcc, exec, s[8:9]
	s_cbranch_vccnz .LBB7_904
; %bb.903:
	s_waitcnt vmcnt(0)
	global_load_ubyte v0, v[0:1], off
	s_waitcnt vmcnt(0)
	v_cvt_f64_u32_e32 v[2:3], v0
.LBB7_904:
	s_or_b64 s[4:5], s[4:5], exec
.LBB7_905:
	s_or_b64 exec, exec, s[6:7]
	s_mov_b64 s[8:9], 0
	s_mov_b64 s[6:7], 0
                                        ; implicit-def: $sgpr14
                                        ; implicit-def: $vgpr4_vgpr5
                                        ; implicit-def: $vgpr0_vgpr1
	s_and_saveexec_b64 s[50:51], s[4:5]
	s_cbranch_execz .LBB7_913
; %bb.906:
	s_getpc_b64 s[4:5]
	s_add_u32 s4, s4, _ZZZZN2at6native12_GLOBAL__N_121bessel_j1_kernel_cudaERNS_18TensorIteratorBaseEENKUlvE_clEvENKUlvE_clEvENKUldE_clEd@rel32@lo+4
	s_addc_u32 s5, s5, _ZZZZN2at6native12_GLOBAL__N_121bessel_j1_kernel_cudaERNS_18TensorIteratorBaseEENKUlvE_clEvENKUlvE_clEvENKUldE_clEd@rel32@hi+12
	s_waitcnt vmcnt(0)
	v_mov_b32_e32 v0, v2
	v_mov_b32_e32 v1, v3
	s_swappc_b64 s[30:31], s[4:5]
	v_mul_lo_u32 v2, v44, s34
	v_mov_b32_e32 v5, s37
	s_and_b32 s14, s33, 0xff
	s_cmp_lt_i32 s14, 11
	v_ashrrev_i32_e32 v3, 31, v2
	v_add_co_u32_e32 v4, vcc, s36, v2
	v_addc_co_u32_e32 v5, vcc, v5, v3, vcc
	s_cbranch_scc1 .LBB7_916
; %bb.907:
	s_and_b32 s15, 0xffff, s14
	s_mov_b64 s[8:9], -1
	s_cmp_gt_i32 s15, 25
	s_mov_b64 s[4:5], s[48:49]
	s_cbranch_scc0 .LBB7_944
; %bb.908:
	s_mov_b64 s[6:7], -1
	s_cmp_gt_i32 s15, 28
	s_mov_b64 s[4:5], s[48:49]
	s_cbranch_scc0 .LBB7_928
; %bb.909:
	s_cmp_gt_i32 s15, 43
	s_mov_b64 s[4:5], s[48:49]
	s_cbranch_scc0 .LBB7_924
; %bb.910:
	;; [unrolled: 4-line block ×3, first 2 shown]
	s_cmp_eq_u32 s15, 46
	s_mov_b64 s[4:5], -1
	s_cbranch_scc0 .LBB7_917
; %bb.912:
	v_cvt_f32_f64_e32 v2, v[0:1]
	s_movk_i32 s4, 0x7fff
	v_mov_b32_e32 v3, 0x7fc0
	s_mov_b64 s[6:7], 0
	v_bfe_u32 v6, v2, 16, 1
	v_cmp_o_f32_e32 vcc, v2, v2
	v_add3_u32 v2, v2, v6, s4
	v_cndmask_b32_sdwa v2, v3, v2, vcc dst_sel:DWORD dst_unused:UNUSED_PAD src0_sel:DWORD src1_sel:WORD_1
	global_store_dword v[4:5], v2, off
	s_mov_b64 s[4:5], 0
	s_branch .LBB7_918
.LBB7_913:
	s_or_b64 exec, exec, s[50:51]
	s_and_saveexec_b64 s[4:5], s[48:49]
	s_cbranch_execnz .LBB7_986
.LBB7_914:
	s_or_b64 exec, exec, s[4:5]
	s_and_saveexec_b64 s[4:5], s[8:9]
	s_xor_b64 s[4:5], exec, s[4:5]
	s_cbranch_execz .LBB7_987
.LBB7_915:
	s_waitcnt vmcnt(0)
	v_cmp_neq_f64_e32 vcc, 0, v[0:1]
	v_cndmask_b32_e64 v2, 0, 1, vcc
	global_store_byte v[4:5], v2, off
	s_or_b64 exec, exec, s[4:5]
	s_and_saveexec_b64 s[4:5], s[6:7]
	s_xor_b64 s[4:5], exec, s[4:5]
	s_cbranch_execz .LBB7_1025
	s_branch .LBB7_988
.LBB7_916:
	s_mov_b64 s[8:9], 0
	s_mov_b64 s[6:7], -1
	s_mov_b64 s[4:5], s[48:49]
	s_branch .LBB7_985
.LBB7_917:
	s_mov_b64 s[6:7], 0
.LBB7_918:
	s_and_b64 vcc, exec, s[6:7]
	s_cbranch_vccz .LBB7_923
; %bb.919:
	s_cmp_eq_u32 s15, 44
	s_mov_b64 s[4:5], -1
	s_cbranch_scc0 .LBB7_923
; %bb.920:
	v_cvt_f32_f64_e32 v2, v[0:1]
	s_movk_i32 s4, 0xff
	v_mov_b32_e32 v6, 0xff
	v_bfe_u32 v3, v2, 23, 8
	v_cmp_ne_u32_e32 vcc, s4, v3
	s_and_saveexec_b64 s[6:7], vcc
; %bb.921:
	s_mov_b32 s4, 0x3fffff
	v_lshrrev_b32_e32 v6, 23, v2
	v_and_b32_e32 v7, 0x400000, v2
	v_and_or_b32 v2, v2, s4, v3
	v_cmp_ne_u32_e32 vcc, 0, v7
	v_cmp_ne_u32_e64 s[4:5], 0, v2
	s_and_b64 s[4:5], vcc, s[4:5]
	v_cndmask_b32_e64 v2, 0, 1, s[4:5]
	v_add_u32_e32 v6, v6, v2
; %bb.922:
	s_or_b64 exec, exec, s[6:7]
	s_mov_b64 s[4:5], 0
	global_store_byte v[4:5], v6, off
.LBB7_923:
	s_mov_b64 s[6:7], 0
.LBB7_924:
	s_and_b64 vcc, exec, s[6:7]
	s_cbranch_vccz .LBB7_927
; %bb.925:
	s_cmp_eq_u32 s15, 29
	s_mov_b64 s[4:5], -1
	s_cbranch_scc0 .LBB7_927
; %bb.926:
	v_trunc_f64_e32 v[2:3], v[0:1]
	s_movk_i32 s4, 0xffe0
	s_mov_b64 s[6:7], 0
	v_ldexp_f64 v[6:7], v[2:3], s4
	s_mov_b32 s4, 0
	s_mov_b32 s5, 0xc1f00000
	v_floor_f64_e32 v[6:7], v[6:7]
	v_fma_f64 v[2:3], v[6:7], s[4:5], v[2:3]
	v_cvt_u32_f64_e32 v7, v[6:7]
	s_mov_b64 s[4:5], 0
	v_cvt_u32_f64_e32 v6, v[2:3]
	global_store_dwordx2 v[4:5], v[6:7], off
	s_branch .LBB7_928
.LBB7_927:
	s_mov_b64 s[6:7], 0
.LBB7_928:
	s_and_b64 vcc, exec, s[6:7]
	s_cbranch_vccz .LBB7_943
; %bb.929:
	s_cmp_lt_i32 s15, 27
	s_mov_b64 s[6:7], -1
	s_cbranch_scc1 .LBB7_935
; %bb.930:
	v_cvt_u32_f64_e32 v2, v[0:1]
	s_cmp_gt_i32 s15, 27
	s_cbranch_scc0 .LBB7_932
; %bb.931:
	s_mov_b64 s[6:7], 0
	global_store_dword v[4:5], v2, off
.LBB7_932:
	s_andn2_b64 vcc, exec, s[6:7]
	s_cbranch_vccnz .LBB7_934
; %bb.933:
	global_store_short v[4:5], v2, off
.LBB7_934:
	s_mov_b64 s[6:7], 0
.LBB7_935:
	s_andn2_b64 vcc, exec, s[6:7]
	s_cbranch_vccnz .LBB7_943
; %bb.936:
	v_cvt_f32_f64_e32 v2, v[0:1]
	s_mov_b32 s6, 0x43800000
	v_mov_b32_e32 v6, 0x80
	v_and_b32_e32 v3, 0x7fffffff, v2
	v_cmp_gt_u32_e32 vcc, s6, v3
	s_and_saveexec_b64 s[6:7], vcc
	s_cbranch_execz .LBB7_942
; %bb.937:
	s_mov_b32 s8, 0x3bffffff
	v_cmp_lt_u32_e32 vcc, s8, v3
	s_mov_b64 s[8:9], 0
                                        ; implicit-def: $vgpr3
	s_and_saveexec_b64 s[10:11], vcc
	s_xor_b64 s[10:11], exec, s[10:11]
	s_cbranch_execz .LBB7_1040
; %bb.938:
	v_bfe_u32 v3, v2, 20, 1
	s_mov_b32 s12, 0x487ffff
	v_add3_u32 v3, v2, v3, s12
	s_mov_b64 s[8:9], exec
	v_lshrrev_b32_e32 v3, 20, v3
	s_andn2_saveexec_b64 s[10:11], s[10:11]
	s_cbranch_execnz .LBB7_1041
.LBB7_939:
	s_or_b64 exec, exec, s[10:11]
	v_mov_b32_e32 v6, 0
	s_and_saveexec_b64 s[10:11], s[8:9]
.LBB7_940:
	v_lshrrev_b32_e32 v2, 24, v2
	s_movk_i32 s8, 0x80
	v_and_or_b32 v6, v2, s8, v3
.LBB7_941:
	s_or_b64 exec, exec, s[10:11]
.LBB7_942:
	s_or_b64 exec, exec, s[6:7]
	global_store_byte v[4:5], v6, off
.LBB7_943:
	s_mov_b64 s[8:9], 0
.LBB7_944:
	s_mov_b64 s[6:7], 0
	s_and_b64 vcc, exec, s[8:9]
	s_cbranch_vccz .LBB7_984
; %bb.945:
	s_cmp_gt_i32 s15, 22
	s_mov_b64 s[8:9], -1
	s_cbranch_scc0 .LBB7_977
; %bb.946:
	s_cmp_lt_i32 s15, 24
	s_cbranch_scc1 .LBB7_966
; %bb.947:
	s_cmp_gt_i32 s15, 24
	s_cbranch_scc0 .LBB7_955
; %bb.948:
	v_cvt_f32_f64_e32 v2, v[0:1]
	s_mov_b32 s8, 0x47800000
	v_mov_b32_e32 v6, 0x80
	v_and_b32_e32 v3, 0x7fffffff, v2
	v_cmp_gt_u32_e32 vcc, s8, v3
	s_and_saveexec_b64 s[8:9], vcc
	s_cbranch_execz .LBB7_954
; %bb.949:
	s_mov_b32 s10, 0x37ffffff
	v_cmp_lt_u32_e32 vcc, s10, v3
	s_mov_b64 s[10:11], 0
                                        ; implicit-def: $vgpr3
	s_and_saveexec_b64 s[12:13], vcc
	s_xor_b64 s[12:13], exec, s[12:13]
	s_cbranch_execz .LBB7_1165
; %bb.950:
	v_bfe_u32 v3, v2, 21, 1
	s_mov_b32 s16, 0x88fffff
	v_add3_u32 v3, v2, v3, s16
	s_mov_b64 s[10:11], exec
	v_lshrrev_b32_e32 v3, 21, v3
	s_andn2_saveexec_b64 s[12:13], s[12:13]
	s_cbranch_execnz .LBB7_1166
.LBB7_951:
	s_or_b64 exec, exec, s[12:13]
	v_mov_b32_e32 v6, 0
	s_and_saveexec_b64 s[12:13], s[10:11]
.LBB7_952:
	v_lshrrev_b32_e32 v2, 24, v2
	s_movk_i32 s10, 0x80
	v_and_or_b32 v6, v2, s10, v3
.LBB7_953:
	s_or_b64 exec, exec, s[12:13]
.LBB7_954:
	s_or_b64 exec, exec, s[8:9]
	s_mov_b64 s[8:9], 0
	global_store_byte v[4:5], v6, off
.LBB7_955:
	s_and_b64 vcc, exec, s[8:9]
	s_cbranch_vccz .LBB7_965
; %bb.956:
	v_cvt_f32_f64_e32 v2, v[0:1]
	s_mov_b32 s8, 0x43f00000
                                        ; implicit-def: $vgpr3
	v_and_b32_e32 v6, 0x7fffffff, v2
	v_cmp_gt_u32_e32 vcc, s8, v6
	s_and_saveexec_b64 s[8:9], vcc
	s_xor_b64 s[8:9], exec, s[8:9]
	s_cbranch_execz .LBB7_962
; %bb.957:
	s_mov_b32 s10, 0x3c7fffff
	v_cmp_lt_u32_e32 vcc, s10, v6
                                        ; implicit-def: $vgpr3
	s_and_saveexec_b64 s[10:11], vcc
	s_xor_b64 s[10:11], exec, s[10:11]
; %bb.958:
	v_bfe_u32 v3, v2, 20, 1
	s_mov_b32 s12, 0x407ffff
	v_add3_u32 v3, v2, v3, s12
	v_lshrrev_b32_e32 v6, 20, v3
	v_and_b32_e32 v3, 0xff00000, v3
	s_mov_b32 s12, 0x7f00000
	v_mov_b32_e32 v7, 0x7e
	v_cmp_ne_u32_e32 vcc, s12, v3
	v_cndmask_b32_e32 v3, v7, v6, vcc
; %bb.959:
	s_andn2_saveexec_b64 s[10:11], s[10:11]
; %bb.960:
	s_mov_b32 s12, 0x46800000
	v_add_f32_e64 v3, |v2|, s12
; %bb.961:
	s_or_b64 exec, exec, s[10:11]
                                        ; implicit-def: $vgpr6
.LBB7_962:
	s_andn2_saveexec_b64 s[8:9], s[8:9]
; %bb.963:
	s_mov_b32 s10, 0x7f800000
	v_mov_b32_e32 v3, 0x7e
	v_mov_b32_e32 v7, 0x7f
	v_cmp_lt_u32_e32 vcc, s10, v6
	v_cndmask_b32_e32 v3, v3, v7, vcc
; %bb.964:
	s_or_b64 exec, exec, s[8:9]
	v_lshrrev_b32_e32 v2, 24, v2
	s_movk_i32 s8, 0x80
	v_and_or_b32 v2, v2, s8, v3
	global_store_byte v[4:5], v2, off
.LBB7_965:
	s_mov_b64 s[8:9], 0
.LBB7_966:
	s_andn2_b64 vcc, exec, s[8:9]
	s_cbranch_vccnz .LBB7_976
; %bb.967:
	v_cvt_f32_f64_e32 v2, v[0:1]
	s_mov_b32 s8, 0x47800000
                                        ; implicit-def: $vgpr3
	v_and_b32_e32 v6, 0x7fffffff, v2
	v_cmp_gt_u32_e32 vcc, s8, v6
	s_and_saveexec_b64 s[8:9], vcc
	s_xor_b64 s[8:9], exec, s[8:9]
	s_cbranch_execz .LBB7_973
; %bb.968:
	s_mov_b32 s10, 0x387fffff
	v_cmp_lt_u32_e32 vcc, s10, v6
                                        ; implicit-def: $vgpr3
	s_and_saveexec_b64 s[10:11], vcc
	s_xor_b64 s[10:11], exec, s[10:11]
; %bb.969:
	v_bfe_u32 v3, v2, 21, 1
	s_mov_b32 s12, 0x80fffff
	v_add3_u32 v3, v2, v3, s12
	v_lshrrev_b32_e32 v3, 21, v3
; %bb.970:
	s_andn2_saveexec_b64 s[10:11], s[10:11]
; %bb.971:
	s_mov_b32 s12, 0x43000000
	v_add_f32_e64 v3, |v2|, s12
; %bb.972:
	s_or_b64 exec, exec, s[10:11]
                                        ; implicit-def: $vgpr6
.LBB7_973:
	s_andn2_saveexec_b64 s[8:9], s[8:9]
; %bb.974:
	s_mov_b32 s10, 0x7f800000
	v_mov_b32_e32 v3, 0x7c
	v_mov_b32_e32 v7, 0x7f
	v_cmp_lt_u32_e32 vcc, s10, v6
	v_cndmask_b32_e32 v3, v3, v7, vcc
; %bb.975:
	s_or_b64 exec, exec, s[8:9]
	v_lshrrev_b32_e32 v2, 24, v2
	s_movk_i32 s8, 0x80
	v_and_or_b32 v2, v2, s8, v3
	global_store_byte v[4:5], v2, off
.LBB7_976:
	s_mov_b64 s[8:9], 0
.LBB7_977:
	s_andn2_b64 vcc, exec, s[8:9]
	s_mov_b64 s[8:9], 0
	s_cbranch_vccnz .LBB7_985
; %bb.978:
	s_cmp_gt_i32 s15, 14
	s_mov_b64 s[10:11], -1
	s_cbranch_scc0 .LBB7_982
; %bb.979:
	s_cmp_eq_u32 s15, 15
	s_mov_b64 s[4:5], -1
	s_cbranch_scc0 .LBB7_981
; %bb.980:
	v_cvt_f32_f64_e32 v2, v[0:1]
	s_movk_i32 s4, 0x7fff
	v_mov_b32_e32 v3, 0x7fc0
	v_bfe_u32 v6, v2, 16, 1
	v_cmp_o_f32_e32 vcc, v2, v2
	v_add3_u32 v2, v2, v6, s4
	v_cndmask_b32_sdwa v2, v3, v2, vcc dst_sel:DWORD dst_unused:UNUSED_PAD src0_sel:DWORD src1_sel:WORD_1
	global_store_short v[4:5], v2, off
	s_mov_b64 s[4:5], 0
.LBB7_981:
	s_mov_b64 s[10:11], 0
.LBB7_982:
	s_and_b64 vcc, exec, s[10:11]
	s_cbranch_vccz .LBB7_985
; %bb.983:
	s_cmp_lg_u32 s15, 11
	s_cselect_b64 s[10:11], -1, 0
	s_andn2_b64 s[4:5], s[4:5], exec
	s_and_b64 s[10:11], s[10:11], exec
	s_mov_b64 s[8:9], -1
	s_or_b64 s[4:5], s[4:5], s[10:11]
	s_branch .LBB7_985
.LBB7_984:
	s_mov_b64 s[8:9], 0
.LBB7_985:
	s_andn2_b64 s[10:11], s[48:49], exec
	s_and_b64 s[4:5], s[4:5], exec
	s_and_b64 s[6:7], s[6:7], exec
	;; [unrolled: 1-line block ×3, first 2 shown]
	s_or_b64 s[48:49], s[10:11], s[4:5]
	s_or_b64 exec, exec, s[50:51]
	s_and_saveexec_b64 s[4:5], s[48:49]
	s_cbranch_execz .LBB7_914
.LBB7_986:
	s_or_b64 s[52:53], s[52:53], exec
	s_andn2_b64 s[8:9], s[8:9], exec
	s_trap 2
	s_or_b64 exec, exec, s[4:5]
	s_and_saveexec_b64 s[4:5], s[8:9]
	s_xor_b64 s[4:5], exec, s[4:5]
	s_cbranch_execnz .LBB7_915
.LBB7_987:
	s_or_b64 exec, exec, s[4:5]
	s_and_saveexec_b64 s[4:5], s[6:7]
	s_xor_b64 s[4:5], exec, s[4:5]
	s_cbranch_execz .LBB7_1025
.LBB7_988:
	s_sext_i32_i16 s8, s14
	s_cmp_lt_i32 s8, 5
	s_mov_b64 s[6:7], -1
	s_cbranch_scc1 .LBB7_1009
; %bb.989:
	s_cmp_lt_i32 s8, 8
	s_cbranch_scc1 .LBB7_999
; %bb.990:
	s_cmp_lt_i32 s8, 9
	s_cbranch_scc1 .LBB7_996
; %bb.991:
	s_cmp_gt_i32 s8, 9
	s_cbranch_scc0 .LBB7_993
; %bb.992:
	s_waitcnt vmcnt(0)
	v_mov_b32_e32 v2, 0
	v_mov_b32_e32 v3, v2
	s_mov_b64 s[6:7], 0
	global_store_dwordx4 v[4:5], v[0:3], off
.LBB7_993:
	s_andn2_b64 vcc, exec, s[6:7]
	s_cbranch_vccnz .LBB7_995
; %bb.994:
	s_waitcnt vmcnt(0)
	v_cvt_f32_f64_e32 v2, v[0:1]
	v_mov_b32_e32 v3, 0
	global_store_dwordx2 v[4:5], v[2:3], off
.LBB7_995:
	s_mov_b64 s[6:7], 0
.LBB7_996:
	s_andn2_b64 vcc, exec, s[6:7]
	s_cbranch_vccnz .LBB7_998
; %bb.997:
	s_movk_i32 s6, 0x1ff
	s_waitcnt vmcnt(0)
	v_and_or_b32 v2, v1, s6, v0
	v_cmp_ne_u32_e32 vcc, 0, v2
	v_cndmask_b32_e64 v2, 0, 1, vcc
	v_lshrrev_b32_e32 v3, 8, v1
	s_movk_i32 s6, 0xffe
	v_bfe_u32 v6, v1, 20, 11
	v_and_or_b32 v2, v3, s6, v2
	v_sub_u32_e32 v7, 0x3f1, v6
	v_or_b32_e32 v3, 0x1000, v2
	v_med3_i32 v7, v7, 0, 13
	v_lshrrev_b32_e32 v8, v7, v3
	v_lshlrev_b32_e32 v7, v7, v8
	v_cmp_ne_u32_e32 vcc, v7, v3
	v_cndmask_b32_e64 v3, 0, 1, vcc
	v_add_u32_e32 v6, 0xfffffc10, v6
	v_or_b32_e32 v3, v8, v3
	v_lshl_or_b32 v7, v6, 12, v2
	v_cmp_gt_i32_e32 vcc, 1, v6
	v_cndmask_b32_e32 v3, v7, v3, vcc
	v_and_b32_e32 v7, 7, v3
	v_cmp_lt_i32_e32 vcc, 5, v7
	v_cndmask_b32_e64 v8, 0, 1, vcc
	v_cmp_eq_u32_e32 vcc, 3, v7
	v_cndmask_b32_e64 v7, 0, 1, vcc
	v_or_b32_e32 v7, v7, v8
	v_lshrrev_b32_e32 v3, 2, v3
	v_add_u32_e32 v3, v3, v7
	v_mov_b32_e32 v7, 0x7c00
	v_cmp_gt_i32_e32 vcc, 31, v6
	v_cndmask_b32_e32 v3, v7, v3, vcc
	v_mov_b32_e32 v8, 0x7e00
	v_cmp_ne_u32_e32 vcc, 0, v2
	s_movk_i32 s6, 0x40f
	v_cndmask_b32_e32 v2, v7, v8, vcc
	v_cmp_eq_u32_e32 vcc, s6, v6
	v_cndmask_b32_e32 v2, v3, v2, vcc
	v_lshrrev_b32_e32 v3, 16, v1
	s_mov_b32 s6, 0x8000
	v_and_or_b32 v2, v3, s6, v2
	v_and_b32_e32 v2, 0xffff, v2
	global_store_dword v[4:5], v2, off
.LBB7_998:
	s_mov_b64 s[6:7], 0
.LBB7_999:
	s_andn2_b64 vcc, exec, s[6:7]
	s_cbranch_vccnz .LBB7_1008
; %bb.1000:
	s_sext_i32_i16 s8, s14
	s_cmp_lt_i32 s8, 6
	s_mov_b64 s[6:7], -1
	s_cbranch_scc1 .LBB7_1006
; %bb.1001:
	s_cmp_gt_i32 s8, 6
	s_cbranch_scc0 .LBB7_1003
; %bb.1002:
	s_mov_b64 s[6:7], 0
	s_waitcnt vmcnt(0)
	global_store_dwordx2 v[4:5], v[0:1], off
.LBB7_1003:
	s_andn2_b64 vcc, exec, s[6:7]
	s_cbranch_vccnz .LBB7_1005
; %bb.1004:
	s_waitcnt vmcnt(0)
	v_cvt_f32_f64_e32 v2, v[0:1]
	global_store_dword v[4:5], v2, off
.LBB7_1005:
	s_mov_b64 s[6:7], 0
.LBB7_1006:
	s_andn2_b64 vcc, exec, s[6:7]
	s_cbranch_vccnz .LBB7_1008
; %bb.1007:
	s_movk_i32 s6, 0x1ff
	s_waitcnt vmcnt(0)
	v_and_or_b32 v2, v1, s6, v0
	v_cmp_ne_u32_e32 vcc, 0, v2
	v_cndmask_b32_e64 v2, 0, 1, vcc
	v_lshrrev_b32_e32 v3, 8, v1
	s_movk_i32 s6, 0xffe
	v_bfe_u32 v6, v1, 20, 11
	v_and_or_b32 v2, v3, s6, v2
	v_sub_u32_e32 v7, 0x3f1, v6
	v_or_b32_e32 v3, 0x1000, v2
	v_med3_i32 v7, v7, 0, 13
	v_lshrrev_b32_e32 v8, v7, v3
	v_lshlrev_b32_e32 v7, v7, v8
	v_cmp_ne_u32_e32 vcc, v7, v3
	v_cndmask_b32_e64 v3, 0, 1, vcc
	v_add_u32_e32 v6, 0xfffffc10, v6
	v_or_b32_e32 v3, v8, v3
	v_lshl_or_b32 v7, v6, 12, v2
	v_cmp_gt_i32_e32 vcc, 1, v6
	v_cndmask_b32_e32 v3, v7, v3, vcc
	v_and_b32_e32 v7, 7, v3
	v_cmp_lt_i32_e32 vcc, 5, v7
	v_cndmask_b32_e64 v8, 0, 1, vcc
	v_cmp_eq_u32_e32 vcc, 3, v7
	v_cndmask_b32_e64 v7, 0, 1, vcc
	v_or_b32_e32 v7, v7, v8
	v_lshrrev_b32_e32 v3, 2, v3
	v_add_u32_e32 v3, v3, v7
	v_mov_b32_e32 v7, 0x7c00
	v_cmp_gt_i32_e32 vcc, 31, v6
	v_cndmask_b32_e32 v3, v7, v3, vcc
	v_mov_b32_e32 v8, 0x7e00
	v_cmp_ne_u32_e32 vcc, 0, v2
	s_movk_i32 s6, 0x40f
	v_cndmask_b32_e32 v2, v7, v8, vcc
	v_cmp_eq_u32_e32 vcc, s6, v6
	v_cndmask_b32_e32 v2, v3, v2, vcc
	v_lshrrev_b32_e32 v3, 16, v1
	s_mov_b32 s6, 0x8000
	v_and_or_b32 v2, v3, s6, v2
	global_store_short v[4:5], v2, off
.LBB7_1008:
	s_mov_b64 s[6:7], 0
.LBB7_1009:
	s_andn2_b64 vcc, exec, s[6:7]
	s_cbranch_vccnz .LBB7_1025
; %bb.1010:
	s_sext_i32_i16 s8, s14
	s_cmp_lt_i32 s8, 2
	s_mov_b64 s[6:7], -1
	s_cbranch_scc1 .LBB7_1020
; %bb.1011:
	s_cmp_lt_i32 s8, 3
	s_cbranch_scc1 .LBB7_1017
; %bb.1012:
	s_cmp_gt_i32 s8, 3
	s_cbranch_scc0 .LBB7_1014
; %bb.1013:
	s_waitcnt vmcnt(0)
	v_trunc_f64_e32 v[2:3], v[0:1]
	s_movk_i32 s6, 0xffe0
	v_ldexp_f64 v[6:7], v[2:3], s6
	s_mov_b32 s6, 0
	s_mov_b32 s7, 0xc1f00000
	v_floor_f64_e32 v[6:7], v[6:7]
	v_fma_f64 v[2:3], v[6:7], s[6:7], v[2:3]
	v_cvt_i32_f64_e32 v7, v[6:7]
	s_mov_b64 s[6:7], 0
	v_cvt_u32_f64_e32 v6, v[2:3]
	global_store_dwordx2 v[4:5], v[6:7], off
.LBB7_1014:
	s_andn2_b64 vcc, exec, s[6:7]
	s_cbranch_vccnz .LBB7_1016
; %bb.1015:
	s_waitcnt vmcnt(0)
	v_cvt_i32_f64_e32 v2, v[0:1]
	global_store_dword v[4:5], v2, off
.LBB7_1016:
	s_mov_b64 s[6:7], 0
.LBB7_1017:
	s_andn2_b64 vcc, exec, s[6:7]
	s_cbranch_vccnz .LBB7_1019
; %bb.1018:
	s_waitcnt vmcnt(0)
	v_cvt_i32_f64_e32 v2, v[0:1]
	global_store_short v[4:5], v2, off
.LBB7_1019:
	s_mov_b64 s[6:7], 0
.LBB7_1020:
	s_andn2_b64 vcc, exec, s[6:7]
	s_cbranch_vccnz .LBB7_1025
; %bb.1021:
	s_sext_i32_i16 s6, s14
	s_cmp_gt_i32 s6, 0
	s_mov_b64 s[6:7], -1
	s_cbranch_scc0 .LBB7_1023
; %bb.1022:
	s_waitcnt vmcnt(0)
	v_cvt_i32_f64_e32 v2, v[0:1]
	s_mov_b64 s[6:7], 0
	global_store_byte v[4:5], v2, off
.LBB7_1023:
	s_andn2_b64 vcc, exec, s[6:7]
	s_cbranch_vccnz .LBB7_1025
; %bb.1024:
	s_waitcnt vmcnt(0)
	v_trunc_f64_e32 v[0:1], v[0:1]
	s_movk_i32 s6, 0xffe0
	v_ldexp_f64 v[2:3], v[0:1], s6
	s_mov_b32 s6, 0
	s_mov_b32 s7, 0xc1f00000
	v_floor_f64_e32 v[2:3], v[2:3]
	v_fma_f64 v[0:1], v[2:3], s[6:7], v[0:1]
	v_cvt_u32_f64_e32 v0, v[0:1]
	global_store_byte v[4:5], v0, off
.LBB7_1025:
	s_or_b64 exec, exec, s[4:5]
	s_and_b64 s[48:49], s[52:53], exec
                                        ; implicit-def: $vgpr44
.LBB7_1026:
	s_or_saveexec_b64 s[46:47], s[46:47]
	s_mov_b64 s[4:5], 0
                                        ; implicit-def: $sgpr52
                                        ; implicit-def: $vgpr4_vgpr5
                                        ; implicit-def: $vgpr0_vgpr1
	s_xor_b64 exec, exec, s[46:47]
	s_cbranch_execz .LBB7_1974
; %bb.1027:
	v_mul_lo_u32 v4, s35, v44
	s_waitcnt vmcnt(0)
	v_mov_b32_e32 v0, s39
	s_and_b32 s14, 0xffff, s64
	s_cmp_lt_i32 s14, 11
	v_ashrrev_i32_e32 v1, 31, v4
	v_add_co_u32_e32 v2, vcc, s38, v4
	v_addc_co_u32_e32 v3, vcc, v0, v1, vcc
	s_cbranch_scc1 .LBB7_1034
; %bb.1028:
	s_cmp_gt_i32 s14, 25
	s_mov_b64 s[6:7], 0
	s_cbranch_scc0 .LBB7_1036
; %bb.1029:
	s_cmp_gt_i32 s14, 28
	s_cbranch_scc0 .LBB7_1037
; %bb.1030:
	s_cmp_gt_i32 s14, 43
	;; [unrolled: 3-line block ×3, first 2 shown]
	s_cbranch_scc0 .LBB7_1039
; %bb.1032:
	s_cmp_eq_u32 s14, 46
	s_mov_b64 s[10:11], 0
	s_cbranch_scc0 .LBB7_1042
; %bb.1033:
	global_load_dword v0, v[2:3], off
	s_mov_b64 s[8:9], -1
	s_waitcnt vmcnt(0)
	v_lshlrev_b32_e32 v0, 16, v0
	v_cvt_f64_f32_e32 v[0:1], v0
	s_branch .LBB7_1043
.LBB7_1034:
	s_mov_b64 s[8:9], 0
                                        ; implicit-def: $vgpr0_vgpr1
	s_mov_b64 s[50:51], s[48:49]
	s_cbranch_execnz .LBB7_1106
.LBB7_1035:
	s_andn2_b64 vcc, exec, s[8:9]
                                        ; implicit-def: $vgpr2_vgpr3
	s_cbranch_vccz .LBB7_1151
	s_branch .LBB7_1972
.LBB7_1036:
	s_mov_b64 s[8:9], 0
                                        ; implicit-def: $vgpr0_vgpr1
	s_cbranch_execnz .LBB7_1073
	s_branch .LBB7_1102
.LBB7_1037:
	s_mov_b64 s[10:11], -1
	s_mov_b64 s[8:9], 0
                                        ; implicit-def: $vgpr0_vgpr1
	s_branch .LBB7_1052
.LBB7_1038:
	s_mov_b64 s[8:9], 0
                                        ; implicit-def: $vgpr0_vgpr1
	s_cbranch_execnz .LBB7_1048
	s_branch .LBB7_1051
.LBB7_1039:
	s_mov_b64 s[10:11], -1
	s_mov_b64 s[8:9], 0
                                        ; implicit-def: $vgpr0_vgpr1
	s_branch .LBB7_1043
.LBB7_1040:
	s_andn2_saveexec_b64 s[10:11], s[10:11]
	s_cbranch_execz .LBB7_939
.LBB7_1041:
	s_mov_b32 s12, 0x46000000
	v_add_f32_e64 v3, |v2|, s12
	v_and_b32_e32 v3, 0xff, v3
	v_cmp_ne_u32_e32 vcc, 0, v3
	s_andn2_b64 s[8:9], s[8:9], exec
	s_and_b64 s[12:13], vcc, exec
	s_or_b64 s[8:9], s[8:9], s[12:13]
	s_or_b64 exec, exec, s[10:11]
	v_mov_b32_e32 v6, 0
	s_and_saveexec_b64 s[10:11], s[8:9]
	s_cbranch_execnz .LBB7_940
	s_branch .LBB7_941
.LBB7_1042:
	s_mov_b64 s[4:5], -1
                                        ; implicit-def: $vgpr0_vgpr1
	s_mov_b64 s[8:9], 0
.LBB7_1043:
	s_and_b64 vcc, exec, s[10:11]
	s_cbranch_vccz .LBB7_1046
; %bb.1044:
	s_cmp_eq_u32 s14, 44
	s_cbranch_scc0 .LBB7_1047
; %bb.1045:
	global_load_ubyte v5, v[2:3], off
	s_movk_i32 s8, 0xff
	v_bfrev_b32_e32 v6, 4
	v_mov_b32_e32 v7, 0x7ff80000
	v_bfrev_b32_e32 v8, 28
	s_mov_b64 s[4:5], 0
	s_waitcnt vmcnt(0)
	v_lshlrev_b32_e32 v0, 23, v5
	v_cvt_f64_f32_e32 v[0:1], v0
	v_cmp_ne_u32_e32 vcc, s8, v5
	s_mov_b64 s[8:9], -1
	v_cndmask_b32_e32 v0, v6, v0, vcc
	v_cndmask_b32_e32 v1, v7, v1, vcc
	v_cmp_ne_u32_e32 vcc, 0, v5
	v_cndmask_b32_e32 v1, v8, v1, vcc
	v_cndmask_b32_e32 v0, 0, v0, vcc
.LBB7_1046:
	s_branch .LBB7_1051
.LBB7_1047:
	s_mov_b64 s[4:5], -1
                                        ; implicit-def: $vgpr0_vgpr1
	s_branch .LBB7_1051
.LBB7_1048:
	s_cmp_eq_u32 s14, 29
	s_cbranch_scc0 .LBB7_1050
; %bb.1049:
	global_load_dwordx2 v[0:1], v[2:3], off
	s_mov_b64 s[4:5], 0
	s_mov_b64 s[8:9], -1
	s_mov_b64 s[10:11], 0
	s_waitcnt vmcnt(0)
	v_cvt_f64_u32_e32 v[5:6], v1
	v_cvt_f64_u32_e32 v[0:1], v0
	v_ldexp_f64 v[5:6], v[5:6], 32
	v_add_f64 v[0:1], v[5:6], v[0:1]
	s_branch .LBB7_1052
.LBB7_1050:
	s_mov_b64 s[4:5], -1
                                        ; implicit-def: $vgpr0_vgpr1
.LBB7_1051:
	s_mov_b64 s[10:11], 0
.LBB7_1052:
	s_and_b64 vcc, exec, s[10:11]
	s_cbranch_vccz .LBB7_1072
; %bb.1053:
	s_cmp_lt_i32 s14, 27
	s_cbranch_scc1 .LBB7_1056
; %bb.1054:
	s_cmp_gt_i32 s14, 27
	s_cbranch_scc0 .LBB7_1057
; %bb.1055:
	global_load_dword v0, v[2:3], off
	s_mov_b64 s[8:9], 0
	s_waitcnt vmcnt(0)
	v_cvt_f64_u32_e32 v[0:1], v0
	s_branch .LBB7_1058
.LBB7_1056:
	s_mov_b64 s[8:9], -1
                                        ; implicit-def: $vgpr0_vgpr1
	s_branch .LBB7_1061
.LBB7_1057:
	s_mov_b64 s[8:9], -1
                                        ; implicit-def: $vgpr0_vgpr1
.LBB7_1058:
	s_andn2_b64 vcc, exec, s[8:9]
	s_cbranch_vccnz .LBB7_1060
; %bb.1059:
	global_load_ushort v0, v[2:3], off
	s_waitcnt vmcnt(0)
	v_cvt_f64_u32_e32 v[0:1], v0
.LBB7_1060:
	s_mov_b64 s[8:9], 0
.LBB7_1061:
	s_andn2_b64 vcc, exec, s[8:9]
	s_cbranch_vccnz .LBB7_1071
; %bb.1062:
	global_load_ubyte v5, v[2:3], off
	s_movk_i32 s8, 0x7f
	s_waitcnt vmcnt(0)
	v_cmp_lt_i16_e32 vcc, s8, v5
	s_mov_b64 s[8:9], 0
	s_and_saveexec_b64 s[10:11], vcc
	s_xor_b64 s[10:11], exec, s[10:11]
	s_cbranch_execz .LBB7_1066
; %bb.1063:
	s_movk_i32 s8, 0x80
	v_cmp_eq_u16_e32 vcc, s8, v5
	s_mov_b64 s[8:9], -1
	s_and_saveexec_b64 s[12:13], vcc
; %bb.1064:
	s_xor_b64 s[8:9], exec, -1
; %bb.1065:
	s_or_b64 exec, exec, s[12:13]
	s_and_b64 s[8:9], s[8:9], exec
.LBB7_1066:
	s_or_saveexec_b64 s[10:11], s[10:11]
	v_bfrev_b32_e32 v0, 4
	v_mov_b32_e32 v1, 0x7ff80000
	s_xor_b64 exec, exec, s[10:11]
; %bb.1067:
	v_cmp_ne_u16_e32 vcc, 0, v5
	v_mov_b32_e32 v0, 0
	s_andn2_b64 s[8:9], s[8:9], exec
	s_and_b64 s[12:13], vcc, exec
	v_mov_b32_e32 v1, 0
	s_or_b64 s[8:9], s[8:9], s[12:13]
; %bb.1068:
	s_or_b64 exec, exec, s[10:11]
	s_and_saveexec_b64 s[10:11], s[8:9]
	s_cbranch_execz .LBB7_1070
; %bb.1069:
	v_and_b32_e32 v1, 0xffff, v5
	v_lshlrev_b32_e32 v0, 24, v5
	v_and_b32_e32 v5, 7, v1
	v_ffbh_u32_e32 v7, v5
	v_min_u32_e32 v7, 32, v7
	v_subrev_u32_e32 v8, 28, v7
	v_bfe_u32 v6, v1, 3, 4
	v_lshlrev_b32_e32 v1, v8, v1
	v_sub_u32_e32 v7, 29, v7
	v_and_b32_e32 v1, 7, v1
	v_cmp_eq_u32_e32 vcc, 0, v6
	v_cndmask_b32_e32 v6, v6, v7, vcc
	v_cndmask_b32_e32 v1, v5, v1, vcc
	v_mov_b32_e32 v5, 0x3b800000
	v_lshlrev_b32_e32 v1, 20, v1
	v_and_b32_e32 v0, 0x80000000, v0
	v_lshl_add_u32 v5, v6, 23, v5
	v_or3_b32 v0, v0, v5, v1
	v_cvt_f64_f32_e32 v[0:1], v0
.LBB7_1070:
	s_or_b64 exec, exec, s[10:11]
.LBB7_1071:
	s_mov_b64 s[8:9], -1
.LBB7_1072:
	s_branch .LBB7_1102
.LBB7_1073:
	s_cmp_gt_i32 s14, 22
	s_cbranch_scc0 .LBB7_1085
; %bb.1074:
	s_cmp_lt_i32 s14, 24
	s_cbranch_scc1 .LBB7_1086
; %bb.1075:
	s_cmp_gt_i32 s14, 24
	s_cbranch_scc0 .LBB7_1087
; %bb.1076:
	global_load_ubyte v5, v[2:3], off
	s_movk_i32 s6, 0x7f
	s_waitcnt vmcnt(0)
	v_cmp_lt_i16_e32 vcc, s6, v5
	s_mov_b64 s[6:7], 0
	s_and_saveexec_b64 s[8:9], vcc
	s_xor_b64 s[8:9], exec, s[8:9]
	s_cbranch_execz .LBB7_1080
; %bb.1077:
	s_movk_i32 s6, 0x80
	v_cmp_eq_u16_e32 vcc, s6, v5
	s_mov_b64 s[6:7], -1
	s_and_saveexec_b64 s[10:11], vcc
; %bb.1078:
	s_xor_b64 s[6:7], exec, -1
; %bb.1079:
	s_or_b64 exec, exec, s[10:11]
	s_and_b64 s[6:7], s[6:7], exec
.LBB7_1080:
	s_or_saveexec_b64 s[8:9], s[8:9]
	v_bfrev_b32_e32 v0, 4
	v_mov_b32_e32 v1, 0x7ff80000
	s_xor_b64 exec, exec, s[8:9]
; %bb.1081:
	v_cmp_ne_u16_e32 vcc, 0, v5
	v_mov_b32_e32 v0, 0
	s_andn2_b64 s[6:7], s[6:7], exec
	s_and_b64 s[10:11], vcc, exec
	v_mov_b32_e32 v1, 0
	s_or_b64 s[6:7], s[6:7], s[10:11]
; %bb.1082:
	s_or_b64 exec, exec, s[8:9]
	s_and_saveexec_b64 s[8:9], s[6:7]
	s_cbranch_execz .LBB7_1084
; %bb.1083:
	v_and_b32_e32 v1, 0xffff, v5
	v_lshlrev_b32_e32 v0, 24, v5
	v_and_b32_e32 v5, 3, v1
	v_ffbh_u32_e32 v7, v5
	v_min_u32_e32 v7, 32, v7
	v_subrev_u32_e32 v8, 29, v7
	v_bfe_u32 v6, v1, 2, 5
	v_lshlrev_b32_e32 v1, v8, v1
	v_sub_u32_e32 v7, 30, v7
	v_and_b32_e32 v1, 3, v1
	v_cmp_eq_u32_e32 vcc, 0, v6
	v_cndmask_b32_e32 v6, v6, v7, vcc
	v_cndmask_b32_e32 v1, v5, v1, vcc
	v_mov_b32_e32 v5, 0x37800000
	v_lshlrev_b32_e32 v1, 21, v1
	v_and_b32_e32 v0, 0x80000000, v0
	v_lshl_add_u32 v5, v6, 23, v5
	v_or3_b32 v0, v0, v5, v1
	v_cvt_f64_f32_e32 v[0:1], v0
.LBB7_1084:
	s_or_b64 exec, exec, s[8:9]
	s_mov_b64 s[6:7], 0
	s_branch .LBB7_1088
.LBB7_1085:
                                        ; implicit-def: $vgpr0_vgpr1
	s_mov_b64 s[6:7], 0
	s_branch .LBB7_1094
.LBB7_1086:
	s_mov_b64 s[6:7], -1
                                        ; implicit-def: $vgpr0_vgpr1
	s_branch .LBB7_1091
.LBB7_1087:
	s_mov_b64 s[6:7], -1
                                        ; implicit-def: $vgpr0_vgpr1
.LBB7_1088:
	s_and_b64 vcc, exec, s[6:7]
	s_cbranch_vccz .LBB7_1090
; %bb.1089:
	global_load_ubyte v0, v[2:3], off
	s_mov_b32 s6, 0x7f800000
	s_waitcnt vmcnt(0)
	v_lshlrev_b32_e32 v0, 24, v0
	v_and_b32_e32 v1, 0x7f000000, v0
	v_ffbh_u32_e32 v5, v1
	v_min_u32_e32 v5, 32, v5
	v_sub_u32_e64 v5, v5, 4 clamp
	v_lshlrev_b32_e32 v7, v5, v1
	v_lshlrev_b32_e32 v5, 23, v5
	v_lshrrev_b32_e32 v7, 4, v7
	v_add_u32_e32 v6, 0x1000000, v1
	v_sub_u32_e32 v5, v7, v5
	v_ashrrev_i32_e32 v6, 8, v6
	v_add_u32_e32 v5, 0x3c000000, v5
	v_and_or_b32 v5, v6, s6, v5
	v_cmp_ne_u32_e32 vcc, 0, v1
	v_cndmask_b32_e32 v1, 0, v5, vcc
	s_brev_b32 s6, 1
	v_and_or_b32 v0, v0, s6, v1
	v_cvt_f64_f32_e32 v[0:1], v0
.LBB7_1090:
	s_mov_b64 s[6:7], 0
.LBB7_1091:
	s_andn2_b64 vcc, exec, s[6:7]
	s_cbranch_vccnz .LBB7_1093
; %bb.1092:
	global_load_ubyte v0, v[2:3], off
	s_movk_i32 s6, 0x7f00
	s_brev_b32 s7, 16
	s_waitcnt vmcnt(0)
	v_lshlrev_b16_e32 v1, 8, v0
	v_lshlrev_b32_e32 v0, 25, v0
	v_lshrrev_b32_e32 v5, 4, v0
	v_and_or_b32 v6, v1, s6, 0.5
	v_or_b32_e32 v5, 0x70000000, v5
	v_add_f32_e32 v6, -0.5, v6
	v_mul_f32_e32 v5, 0x7800000, v5
	v_cmp_gt_u32_e32 vcc, s7, v0
	v_bfe_i32 v1, v1, 0, 16
	v_cndmask_b32_e32 v0, v5, v6, vcc
	s_brev_b32 s6, 1
	v_and_or_b32 v0, v1, s6, v0
	v_cvt_f64_f32_e32 v[0:1], v0
.LBB7_1093:
	s_mov_b64 s[8:9], -1
	s_mov_b64 s[6:7], 0
	s_cbranch_execnz .LBB7_1102
.LBB7_1094:
	s_cmp_gt_i32 s14, 14
	s_cbranch_scc0 .LBB7_1097
; %bb.1095:
	s_cmp_eq_u32 s14, 15
	s_cbranch_scc0 .LBB7_1098
; %bb.1096:
	global_load_ushort v0, v[2:3], off
	s_mov_b64 s[4:5], 0
	s_mov_b64 s[8:9], -1
	s_waitcnt vmcnt(0)
	v_lshlrev_b32_e32 v0, 16, v0
	v_cvt_f64_f32_e32 v[0:1], v0
	s_branch .LBB7_1099
.LBB7_1097:
	s_mov_b64 s[10:11], -1
                                        ; implicit-def: $vgpr0_vgpr1
	s_branch .LBB7_1100
.LBB7_1098:
	s_mov_b64 s[4:5], -1
                                        ; implicit-def: $vgpr0_vgpr1
.LBB7_1099:
	s_mov_b64 s[10:11], 0
.LBB7_1100:
	s_and_b64 vcc, exec, s[10:11]
	s_cbranch_vccz .LBB7_1102
; %bb.1101:
	s_cmp_lg_u32 s14, 11
	s_mov_b64 s[6:7], -1
	s_cselect_b64 s[4:5], -1, 0
.LBB7_1102:
	s_and_b64 vcc, exec, s[4:5]
	s_mov_b64 s[50:51], s[48:49]
	s_cbranch_vccnz .LBB7_1163
; %bb.1103:
	s_andn2_b64 vcc, exec, s[6:7]
	s_cbranch_vccnz .LBB7_1105
.LBB7_1104:
	global_load_ubyte v1, v[2:3], off
	v_mov_b32_e32 v5, 0x3ff00000
	v_mov_b32_e32 v0, 0
	s_mov_b64 s[8:9], -1
	s_waitcnt vmcnt(0)
	v_cmp_ne_u16_e32 vcc, 0, v1
	v_cndmask_b32_e32 v1, 0, v5, vcc
.LBB7_1105:
	s_branch .LBB7_1035
.LBB7_1106:
	s_cmp_lt_i32 s14, 5
	s_cbranch_scc1 .LBB7_1111
; %bb.1107:
	s_cmp_lt_i32 s14, 8
	s_cbranch_scc1 .LBB7_1112
; %bb.1108:
	;; [unrolled: 3-line block ×3, first 2 shown]
	s_cmp_gt_i32 s14, 9
	s_cbranch_scc0 .LBB7_1114
; %bb.1110:
	global_load_dwordx2 v[0:1], v[2:3], off
	s_mov_b64 s[4:5], 0
	s_branch .LBB7_1115
.LBB7_1111:
                                        ; implicit-def: $vgpr0_vgpr1
	s_branch .LBB7_1132
.LBB7_1112:
                                        ; implicit-def: $vgpr0_vgpr1
	s_branch .LBB7_1121
.LBB7_1113:
	s_mov_b64 s[4:5], -1
                                        ; implicit-def: $vgpr0_vgpr1
	s_branch .LBB7_1118
.LBB7_1114:
	s_mov_b64 s[4:5], -1
                                        ; implicit-def: $vgpr0_vgpr1
.LBB7_1115:
	s_andn2_b64 vcc, exec, s[4:5]
	s_cbranch_vccnz .LBB7_1117
; %bb.1116:
	global_load_dword v0, v[2:3], off
	s_waitcnt vmcnt(0)
	v_cvt_f64_f32_e32 v[0:1], v0
.LBB7_1117:
	s_mov_b64 s[4:5], 0
.LBB7_1118:
	s_andn2_b64 vcc, exec, s[4:5]
	s_cbranch_vccnz .LBB7_1120
; %bb.1119:
	global_load_dword v0, v[2:3], off
	s_waitcnt vmcnt(0)
	v_cvt_f32_f16_e32 v0, v0
	v_cvt_f64_f32_e32 v[0:1], v0
.LBB7_1120:
	s_cbranch_execnz .LBB7_1131
.LBB7_1121:
	s_cmp_lt_i32 s14, 6
	s_cbranch_scc1 .LBB7_1124
; %bb.1122:
	s_cmp_gt_i32 s14, 6
	s_cbranch_scc0 .LBB7_1125
; %bb.1123:
	global_load_dwordx2 v[0:1], v[2:3], off
	s_mov_b64 s[4:5], 0
	s_branch .LBB7_1126
.LBB7_1124:
	s_mov_b64 s[4:5], -1
                                        ; implicit-def: $vgpr0_vgpr1
	s_branch .LBB7_1129
.LBB7_1125:
	s_mov_b64 s[4:5], -1
                                        ; implicit-def: $vgpr0_vgpr1
.LBB7_1126:
	s_andn2_b64 vcc, exec, s[4:5]
	s_cbranch_vccnz .LBB7_1128
; %bb.1127:
	global_load_dword v0, v[2:3], off
	s_waitcnt vmcnt(0)
	v_cvt_f64_f32_e32 v[0:1], v0
.LBB7_1128:
	s_mov_b64 s[4:5], 0
.LBB7_1129:
	s_andn2_b64 vcc, exec, s[4:5]
	s_cbranch_vccnz .LBB7_1131
; %bb.1130:
	global_load_ushort v0, v[2:3], off
	s_waitcnt vmcnt(0)
	v_cvt_f32_f16_e32 v0, v0
	v_cvt_f64_f32_e32 v[0:1], v0
.LBB7_1131:
	s_cbranch_execnz .LBB7_1150
.LBB7_1132:
	s_cmp_lt_i32 s14, 2
	s_cbranch_scc1 .LBB7_1136
; %bb.1133:
	s_cmp_lt_i32 s14, 3
	s_cbranch_scc1 .LBB7_1137
; %bb.1134:
	s_cmp_gt_i32 s14, 3
	s_cbranch_scc0 .LBB7_1138
; %bb.1135:
	global_load_dwordx2 v[0:1], v[2:3], off
	s_mov_b64 s[4:5], 0
	s_waitcnt vmcnt(0)
	v_cvt_f64_i32_e32 v[5:6], v1
	v_cvt_f64_u32_e32 v[0:1], v0
	v_ldexp_f64 v[5:6], v[5:6], 32
	v_add_f64 v[0:1], v[5:6], v[0:1]
	s_branch .LBB7_1139
.LBB7_1136:
                                        ; implicit-def: $vgpr0_vgpr1
	s_branch .LBB7_1145
.LBB7_1137:
	s_mov_b64 s[4:5], -1
                                        ; implicit-def: $vgpr0_vgpr1
	s_branch .LBB7_1142
.LBB7_1138:
	s_mov_b64 s[4:5], -1
                                        ; implicit-def: $vgpr0_vgpr1
.LBB7_1139:
	s_andn2_b64 vcc, exec, s[4:5]
	s_cbranch_vccnz .LBB7_1141
; %bb.1140:
	global_load_dword v0, v[2:3], off
	s_waitcnt vmcnt(0)
	v_cvt_f64_i32_e32 v[0:1], v0
.LBB7_1141:
	s_mov_b64 s[4:5], 0
.LBB7_1142:
	s_andn2_b64 vcc, exec, s[4:5]
	s_cbranch_vccnz .LBB7_1144
; %bb.1143:
	global_load_sshort v0, v[2:3], off
	s_waitcnt vmcnt(0)
	v_cvt_f64_i32_e32 v[0:1], v0
.LBB7_1144:
	s_cbranch_execnz .LBB7_1150
.LBB7_1145:
	s_cmp_gt_i32 s14, 0
	s_cbranch_scc0 .LBB7_1147
; %bb.1146:
	global_load_sbyte v0, v[2:3], off
	s_mov_b64 s[4:5], 0
	s_waitcnt vmcnt(0)
	v_cvt_f64_i32_e32 v[0:1], v0
	s_branch .LBB7_1148
.LBB7_1147:
	s_mov_b64 s[4:5], -1
                                        ; implicit-def: $vgpr0_vgpr1
.LBB7_1148:
	s_andn2_b64 vcc, exec, s[4:5]
	s_cbranch_vccnz .LBB7_1150
; %bb.1149:
	global_load_ubyte v0, v[2:3], off
	s_waitcnt vmcnt(0)
	v_cvt_f64_u32_e32 v[0:1], v0
.LBB7_1150:
                                        ; implicit-def: $vgpr2_vgpr3
.LBB7_1151:
	s_lshl_b32 s15, s35, 7
	v_add_u32_e32 v4, s15, v4
	v_ashrrev_i32_e32 v3, 31, v4
	v_mov_b32_e32 v5, s39
	v_add_co_u32_e32 v2, vcc, s38, v4
	s_cmp_lt_i32 s14, 11
	v_addc_co_u32_e32 v3, vcc, v5, v3, vcc
	s_cbranch_scc1 .LBB7_1158
; %bb.1152:
	s_cmp_gt_i32 s14, 25
	s_mov_b64 s[6:7], 0
	s_cbranch_scc0 .LBB7_1160
; %bb.1153:
	s_cmp_gt_i32 s14, 28
	s_cbranch_scc0 .LBB7_1161
; %bb.1154:
	s_cmp_gt_i32 s14, 43
	;; [unrolled: 3-line block ×3, first 2 shown]
	s_cbranch_scc0 .LBB7_1164
; %bb.1156:
	s_cmp_eq_u32 s14, 46
	s_mov_b64 s[10:11], 0
	s_cbranch_scc0 .LBB7_1167
; %bb.1157:
	global_load_dword v5, v[2:3], off
	s_mov_b64 s[4:5], 0
	s_mov_b64 s[8:9], -1
	s_waitcnt vmcnt(0)
	v_lshlrev_b32_e32 v5, 16, v5
	v_cvt_f64_f32_e32 v[42:43], v5
	s_branch .LBB7_1168
.LBB7_1158:
	s_mov_b64 s[8:9], 0
                                        ; implicit-def: $vgpr42_vgpr43
	s_cbranch_execnz .LBB7_1233
.LBB7_1159:
	s_andn2_b64 vcc, exec, s[8:9]
	s_cbranch_vccnz .LBB7_1972
	s_branch .LBB7_1280
.LBB7_1160:
	s_mov_b64 s[8:9], 0
	s_mov_b64 s[4:5], 0
                                        ; implicit-def: $vgpr42_vgpr43
	s_cbranch_execnz .LBB7_1199
	s_branch .LBB7_1229
.LBB7_1161:
	s_mov_b64 s[10:11], -1
	s_mov_b64 s[8:9], 0
	s_mov_b64 s[4:5], 0
                                        ; implicit-def: $vgpr42_vgpr43
	s_branch .LBB7_1178
.LBB7_1162:
	s_mov_b64 s[10:11], -1
	s_mov_b64 s[8:9], 0
	s_mov_b64 s[4:5], 0
                                        ; implicit-def: $vgpr42_vgpr43
	s_branch .LBB7_1173
.LBB7_1163:
	s_or_b64 s[50:51], s[48:49], exec
	s_trap 2
	s_cbranch_execz .LBB7_1104
	s_branch .LBB7_1105
.LBB7_1164:
	s_mov_b64 s[10:11], -1
	s_mov_b64 s[8:9], 0
	s_mov_b64 s[4:5], 0
                                        ; implicit-def: $vgpr42_vgpr43
	s_branch .LBB7_1168
.LBB7_1165:
	s_andn2_saveexec_b64 s[12:13], s[12:13]
	s_cbranch_execz .LBB7_951
.LBB7_1166:
	s_mov_b32 s16, 0x42800000
	v_add_f32_e64 v3, |v2|, s16
	v_and_b32_e32 v3, 0xff, v3
	v_cmp_ne_u32_e32 vcc, 0, v3
	s_andn2_b64 s[10:11], s[10:11], exec
	s_and_b64 s[16:17], vcc, exec
	s_or_b64 s[10:11], s[10:11], s[16:17]
	s_or_b64 exec, exec, s[12:13]
	v_mov_b32_e32 v6, 0
	s_and_saveexec_b64 s[12:13], s[10:11]
	s_cbranch_execnz .LBB7_952
	s_branch .LBB7_953
.LBB7_1167:
	s_mov_b64 s[4:5], -1
                                        ; implicit-def: $vgpr42_vgpr43
	s_mov_b64 s[8:9], 0
.LBB7_1168:
	s_and_b64 vcc, exec, s[10:11]
	s_cbranch_vccz .LBB7_1172
; %bb.1169:
	s_cmp_eq_u32 s14, 44
	s_cbranch_scc0 .LBB7_1171
; %bb.1170:
	global_load_ubyte v7, v[2:3], off
	s_movk_i32 s8, 0xff
	v_bfrev_b32_e32 v8, 4
	v_mov_b32_e32 v9, 0x7ff80000
	v_bfrev_b32_e32 v10, 28
	s_mov_b64 s[4:5], 0
	s_waitcnt vmcnt(0)
	v_lshlrev_b32_e32 v5, 23, v7
	v_cvt_f64_f32_e32 v[5:6], v5
	v_cmp_ne_u32_e32 vcc, s8, v7
	s_mov_b64 s[8:9], -1
	v_cndmask_b32_e32 v5, v8, v5, vcc
	v_cndmask_b32_e32 v6, v9, v6, vcc
	v_cmp_ne_u32_e32 vcc, 0, v7
	v_cndmask_b32_e32 v43, v10, v6, vcc
	v_cndmask_b32_e32 v42, 0, v5, vcc
	s_branch .LBB7_1172
.LBB7_1171:
	s_mov_b64 s[4:5], -1
                                        ; implicit-def: $vgpr42_vgpr43
.LBB7_1172:
	s_mov_b64 s[10:11], 0
.LBB7_1173:
	s_and_b64 vcc, exec, s[10:11]
	s_cbranch_vccz .LBB7_1177
; %bb.1174:
	s_cmp_eq_u32 s14, 29
	s_cbranch_scc0 .LBB7_1176
; %bb.1175:
	global_load_dwordx2 v[5:6], v[2:3], off
	s_mov_b64 s[4:5], 0
	s_mov_b64 s[8:9], -1
	s_mov_b64 s[10:11], 0
	s_waitcnt vmcnt(0)
	v_cvt_f64_u32_e32 v[6:7], v6
	v_cvt_f64_u32_e32 v[8:9], v5
	v_ldexp_f64 v[6:7], v[6:7], 32
	v_add_f64 v[42:43], v[6:7], v[8:9]
	s_branch .LBB7_1178
.LBB7_1176:
	s_mov_b64 s[4:5], -1
                                        ; implicit-def: $vgpr42_vgpr43
.LBB7_1177:
	s_mov_b64 s[10:11], 0
.LBB7_1178:
	s_and_b64 vcc, exec, s[10:11]
	s_cbranch_vccz .LBB7_1198
; %bb.1179:
	s_cmp_lt_i32 s14, 27
	s_cbranch_scc1 .LBB7_1182
; %bb.1180:
	s_cmp_gt_i32 s14, 27
	s_cbranch_scc0 .LBB7_1183
; %bb.1181:
	global_load_dword v5, v[2:3], off
	s_mov_b64 s[8:9], 0
	s_waitcnt vmcnt(0)
	v_cvt_f64_u32_e32 v[42:43], v5
	s_branch .LBB7_1184
.LBB7_1182:
	s_mov_b64 s[8:9], -1
                                        ; implicit-def: $vgpr42_vgpr43
	s_branch .LBB7_1187
.LBB7_1183:
	s_mov_b64 s[8:9], -1
                                        ; implicit-def: $vgpr42_vgpr43
.LBB7_1184:
	s_andn2_b64 vcc, exec, s[8:9]
	s_cbranch_vccnz .LBB7_1186
; %bb.1185:
	global_load_ushort v5, v[2:3], off
	s_waitcnt vmcnt(0)
	v_cvt_f64_u32_e32 v[42:43], v5
.LBB7_1186:
	s_mov_b64 s[8:9], 0
.LBB7_1187:
	s_andn2_b64 vcc, exec, s[8:9]
	s_cbranch_vccnz .LBB7_1197
; %bb.1188:
	global_load_ubyte v5, v[2:3], off
	s_movk_i32 s8, 0x7f
	s_waitcnt vmcnt(0)
	v_cmp_lt_i16_e32 vcc, s8, v5
	s_mov_b64 s[8:9], 0
	s_and_saveexec_b64 s[10:11], vcc
	s_xor_b64 s[10:11], exec, s[10:11]
	s_cbranch_execz .LBB7_1192
; %bb.1189:
	s_movk_i32 s8, 0x80
	v_cmp_eq_u16_e32 vcc, s8, v5
	s_mov_b64 s[8:9], -1
	s_and_saveexec_b64 s[12:13], vcc
; %bb.1190:
	s_xor_b64 s[8:9], exec, -1
; %bb.1191:
	s_or_b64 exec, exec, s[12:13]
	s_and_b64 s[8:9], s[8:9], exec
.LBB7_1192:
	s_or_saveexec_b64 s[10:11], s[10:11]
	v_bfrev_b32_e32 v42, 4
	v_mov_b32_e32 v43, 0x7ff80000
	s_xor_b64 exec, exec, s[10:11]
; %bb.1193:
	v_cmp_ne_u16_e32 vcc, 0, v5
	v_mov_b32_e32 v42, 0
	s_andn2_b64 s[8:9], s[8:9], exec
	s_and_b64 s[12:13], vcc, exec
	v_mov_b32_e32 v43, 0
	s_or_b64 s[8:9], s[8:9], s[12:13]
; %bb.1194:
	s_or_b64 exec, exec, s[10:11]
	s_and_saveexec_b64 s[10:11], s[8:9]
	s_cbranch_execz .LBB7_1196
; %bb.1195:
	v_lshlrev_b32_e32 v6, 24, v5
	v_and_b32_e32 v5, 0xffff, v5
	v_and_b32_e32 v7, 7, v5
	v_ffbh_u32_e32 v9, v7
	v_min_u32_e32 v9, 32, v9
	v_subrev_u32_e32 v10, 28, v9
	v_bfe_u32 v8, v5, 3, 4
	v_lshlrev_b32_e32 v5, v10, v5
	v_sub_u32_e32 v9, 29, v9
	v_and_b32_e32 v5, 7, v5
	v_cmp_eq_u32_e32 vcc, 0, v8
	v_cndmask_b32_e32 v8, v8, v9, vcc
	v_cndmask_b32_e32 v5, v7, v5, vcc
	v_mov_b32_e32 v7, 0x3b800000
	v_lshlrev_b32_e32 v5, 20, v5
	v_and_b32_e32 v6, 0x80000000, v6
	v_lshl_add_u32 v7, v8, 23, v7
	v_or3_b32 v5, v6, v7, v5
	v_cvt_f64_f32_e32 v[42:43], v5
.LBB7_1196:
	s_or_b64 exec, exec, s[10:11]
.LBB7_1197:
	s_mov_b64 s[8:9], -1
.LBB7_1198:
	s_branch .LBB7_1229
.LBB7_1199:
	s_cmp_gt_i32 s14, 22
	s_cbranch_scc0 .LBB7_1211
; %bb.1200:
	s_cmp_lt_i32 s14, 24
	s_cbranch_scc1 .LBB7_1212
; %bb.1201:
	s_cmp_gt_i32 s14, 24
	s_cbranch_scc0 .LBB7_1213
; %bb.1202:
	global_load_ubyte v5, v[2:3], off
	s_movk_i32 s6, 0x7f
	s_waitcnt vmcnt(0)
	v_cmp_lt_i16_e32 vcc, s6, v5
	s_mov_b64 s[6:7], 0
	s_and_saveexec_b64 s[8:9], vcc
	s_xor_b64 s[8:9], exec, s[8:9]
	s_cbranch_execz .LBB7_1206
; %bb.1203:
	s_movk_i32 s6, 0x80
	v_cmp_eq_u16_e32 vcc, s6, v5
	s_mov_b64 s[6:7], -1
	s_and_saveexec_b64 s[10:11], vcc
; %bb.1204:
	s_xor_b64 s[6:7], exec, -1
; %bb.1205:
	s_or_b64 exec, exec, s[10:11]
	s_and_b64 s[6:7], s[6:7], exec
.LBB7_1206:
	s_or_saveexec_b64 s[8:9], s[8:9]
	v_bfrev_b32_e32 v42, 4
	v_mov_b32_e32 v43, 0x7ff80000
	s_xor_b64 exec, exec, s[8:9]
; %bb.1207:
	v_cmp_ne_u16_e32 vcc, 0, v5
	v_mov_b32_e32 v42, 0
	s_andn2_b64 s[6:7], s[6:7], exec
	s_and_b64 s[10:11], vcc, exec
	v_mov_b32_e32 v43, 0
	s_or_b64 s[6:7], s[6:7], s[10:11]
; %bb.1208:
	s_or_b64 exec, exec, s[8:9]
	s_and_saveexec_b64 s[8:9], s[6:7]
	s_cbranch_execz .LBB7_1210
; %bb.1209:
	v_lshlrev_b32_e32 v6, 24, v5
	v_and_b32_e32 v5, 0xffff, v5
	v_and_b32_e32 v7, 3, v5
	v_ffbh_u32_e32 v9, v7
	v_min_u32_e32 v9, 32, v9
	v_subrev_u32_e32 v10, 29, v9
	v_bfe_u32 v8, v5, 2, 5
	v_lshlrev_b32_e32 v5, v10, v5
	v_sub_u32_e32 v9, 30, v9
	v_and_b32_e32 v5, 3, v5
	v_cmp_eq_u32_e32 vcc, 0, v8
	v_cndmask_b32_e32 v8, v8, v9, vcc
	v_cndmask_b32_e32 v5, v7, v5, vcc
	v_mov_b32_e32 v7, 0x37800000
	v_lshlrev_b32_e32 v5, 21, v5
	v_and_b32_e32 v6, 0x80000000, v6
	v_lshl_add_u32 v7, v8, 23, v7
	v_or3_b32 v5, v6, v7, v5
	v_cvt_f64_f32_e32 v[42:43], v5
.LBB7_1210:
	s_or_b64 exec, exec, s[8:9]
	s_mov_b64 s[6:7], 0
	s_branch .LBB7_1214
.LBB7_1211:
	s_mov_b64 s[6:7], -1
                                        ; implicit-def: $vgpr42_vgpr43
	s_branch .LBB7_1220
.LBB7_1212:
	s_mov_b64 s[6:7], -1
                                        ; implicit-def: $vgpr42_vgpr43
	s_branch .LBB7_1217
.LBB7_1213:
	s_mov_b64 s[6:7], -1
                                        ; implicit-def: $vgpr42_vgpr43
.LBB7_1214:
	s_and_b64 vcc, exec, s[6:7]
	s_cbranch_vccz .LBB7_1216
; %bb.1215:
	global_load_ubyte v5, v[2:3], off
	s_mov_b32 s6, 0x7f800000
	s_waitcnt vmcnt(0)
	v_lshlrev_b32_e32 v5, 24, v5
	v_and_b32_e32 v6, 0x7f000000, v5
	v_ffbh_u32_e32 v7, v6
	v_min_u32_e32 v7, 32, v7
	v_sub_u32_e64 v7, v7, 4 clamp
	v_lshlrev_b32_e32 v9, v7, v6
	v_lshlrev_b32_e32 v7, 23, v7
	v_lshrrev_b32_e32 v9, 4, v9
	v_add_u32_e32 v8, 0x1000000, v6
	v_sub_u32_e32 v7, v9, v7
	v_ashrrev_i32_e32 v8, 8, v8
	v_add_u32_e32 v7, 0x3c000000, v7
	v_and_or_b32 v7, v8, s6, v7
	v_cmp_ne_u32_e32 vcc, 0, v6
	v_cndmask_b32_e32 v6, 0, v7, vcc
	s_brev_b32 s6, 1
	v_and_or_b32 v5, v5, s6, v6
	v_cvt_f64_f32_e32 v[42:43], v5
.LBB7_1216:
	s_mov_b64 s[6:7], 0
.LBB7_1217:
	s_andn2_b64 vcc, exec, s[6:7]
	s_cbranch_vccnz .LBB7_1219
; %bb.1218:
	global_load_ubyte v5, v[2:3], off
	s_movk_i32 s6, 0x7f00
	s_brev_b32 s7, 16
	s_waitcnt vmcnt(0)
	v_lshlrev_b16_e32 v6, 8, v5
	v_lshlrev_b32_e32 v5, 25, v5
	v_lshrrev_b32_e32 v7, 4, v5
	v_and_or_b32 v8, v6, s6, 0.5
	v_or_b32_e32 v7, 0x70000000, v7
	v_add_f32_e32 v8, -0.5, v8
	v_mul_f32_e32 v7, 0x7800000, v7
	v_cmp_gt_u32_e32 vcc, s7, v5
	v_bfe_i32 v6, v6, 0, 16
	v_cndmask_b32_e32 v5, v7, v8, vcc
	s_brev_b32 s6, 1
	v_and_or_b32 v5, v6, s6, v5
	v_cvt_f64_f32_e32 v[42:43], v5
.LBB7_1219:
	s_mov_b64 s[6:7], 0
	s_mov_b64 s[8:9], -1
.LBB7_1220:
	s_andn2_b64 vcc, exec, s[6:7]
	s_mov_b64 s[6:7], 0
	s_cbranch_vccnz .LBB7_1229
; %bb.1221:
	s_cmp_gt_i32 s14, 14
	s_cbranch_scc0 .LBB7_1224
; %bb.1222:
	s_cmp_eq_u32 s14, 15
	s_cbranch_scc0 .LBB7_1225
; %bb.1223:
	global_load_ushort v5, v[2:3], off
	s_mov_b64 s[4:5], 0
	s_mov_b64 s[8:9], -1
	s_waitcnt vmcnt(0)
	v_lshlrev_b32_e32 v5, 16, v5
	v_cvt_f64_f32_e32 v[42:43], v5
	s_branch .LBB7_1226
.LBB7_1224:
	s_mov_b64 s[10:11], -1
                                        ; implicit-def: $vgpr42_vgpr43
	s_branch .LBB7_1227
.LBB7_1225:
	s_mov_b64 s[4:5], -1
                                        ; implicit-def: $vgpr42_vgpr43
.LBB7_1226:
	s_mov_b64 s[10:11], 0
.LBB7_1227:
	s_and_b64 vcc, exec, s[10:11]
	s_cbranch_vccz .LBB7_1229
; %bb.1228:
	s_cmp_lg_u32 s14, 11
	s_mov_b64 s[6:7], -1
	s_cselect_b64 s[4:5], -1, 0
.LBB7_1229:
	s_and_b64 vcc, exec, s[4:5]
	s_cbranch_vccnz .LBB7_1292
; %bb.1230:
	s_andn2_b64 vcc, exec, s[6:7]
	s_cbranch_vccnz .LBB7_1232
.LBB7_1231:
	global_load_ubyte v5, v[2:3], off
	v_mov_b32_e32 v6, 0x3ff00000
	v_mov_b32_e32 v42, 0
	s_mov_b64 s[8:9], -1
	s_waitcnt vmcnt(0)
	v_cmp_ne_u16_e32 vcc, 0, v5
	v_cndmask_b32_e32 v43, 0, v6, vcc
.LBB7_1232:
	s_branch .LBB7_1159
.LBB7_1233:
	s_cmp_lt_i32 s14, 5
	s_cbranch_scc1 .LBB7_1238
; %bb.1234:
	s_cmp_lt_i32 s14, 8
	s_cbranch_scc1 .LBB7_1239
; %bb.1235:
	s_cmp_lt_i32 s14, 9
	s_cbranch_scc1 .LBB7_1240
; %bb.1236:
	s_cmp_gt_i32 s14, 9
	s_cbranch_scc0 .LBB7_1241
; %bb.1237:
	global_load_dwordx2 v[42:43], v[2:3], off
	s_mov_b64 s[4:5], 0
	s_branch .LBB7_1242
.LBB7_1238:
                                        ; implicit-def: $vgpr42_vgpr43
	s_branch .LBB7_1260
.LBB7_1239:
	s_mov_b64 s[4:5], -1
                                        ; implicit-def: $vgpr42_vgpr43
	s_branch .LBB7_1248
.LBB7_1240:
	s_mov_b64 s[4:5], -1
                                        ; implicit-def: $vgpr42_vgpr43
	s_branch .LBB7_1245
.LBB7_1241:
	s_mov_b64 s[4:5], -1
                                        ; implicit-def: $vgpr42_vgpr43
.LBB7_1242:
	s_andn2_b64 vcc, exec, s[4:5]
	s_cbranch_vccnz .LBB7_1244
; %bb.1243:
	global_load_dword v5, v[2:3], off
	s_waitcnt vmcnt(0)
	v_cvt_f64_f32_e32 v[42:43], v5
.LBB7_1244:
	s_mov_b64 s[4:5], 0
.LBB7_1245:
	s_andn2_b64 vcc, exec, s[4:5]
	s_cbranch_vccnz .LBB7_1247
; %bb.1246:
	global_load_dword v5, v[2:3], off
	s_waitcnt vmcnt(0)
	v_cvt_f32_f16_e32 v5, v5
	v_cvt_f64_f32_e32 v[42:43], v5
.LBB7_1247:
	s_mov_b64 s[4:5], 0
.LBB7_1248:
	s_andn2_b64 vcc, exec, s[4:5]
	s_cbranch_vccnz .LBB7_1259
; %bb.1249:
	s_cmp_lt_i32 s14, 6
	s_cbranch_scc1 .LBB7_1252
; %bb.1250:
	s_cmp_gt_i32 s14, 6
	s_cbranch_scc0 .LBB7_1253
; %bb.1251:
	global_load_dwordx2 v[42:43], v[2:3], off
	s_mov_b64 s[4:5], 0
	s_branch .LBB7_1254
.LBB7_1252:
	s_mov_b64 s[4:5], -1
                                        ; implicit-def: $vgpr42_vgpr43
	s_branch .LBB7_1257
.LBB7_1253:
	s_mov_b64 s[4:5], -1
                                        ; implicit-def: $vgpr42_vgpr43
.LBB7_1254:
	s_andn2_b64 vcc, exec, s[4:5]
	s_cbranch_vccnz .LBB7_1256
; %bb.1255:
	global_load_dword v5, v[2:3], off
	s_waitcnt vmcnt(0)
	v_cvt_f64_f32_e32 v[42:43], v5
.LBB7_1256:
	s_mov_b64 s[4:5], 0
.LBB7_1257:
	s_andn2_b64 vcc, exec, s[4:5]
	s_cbranch_vccnz .LBB7_1259
; %bb.1258:
	global_load_ushort v5, v[2:3], off
	s_waitcnt vmcnt(0)
	v_cvt_f32_f16_e32 v5, v5
	v_cvt_f64_f32_e32 v[42:43], v5
.LBB7_1259:
	s_cbranch_execnz .LBB7_1279
.LBB7_1260:
	s_cmp_lt_i32 s14, 2
	s_cbranch_scc1 .LBB7_1264
; %bb.1261:
	s_cmp_lt_i32 s14, 3
	s_cbranch_scc1 .LBB7_1265
; %bb.1262:
	s_cmp_gt_i32 s14, 3
	s_cbranch_scc0 .LBB7_1266
; %bb.1263:
	global_load_dwordx2 v[5:6], v[2:3], off
	s_mov_b64 s[4:5], 0
	s_waitcnt vmcnt(0)
	v_cvt_f64_i32_e32 v[6:7], v6
	v_cvt_f64_u32_e32 v[8:9], v5
	v_ldexp_f64 v[6:7], v[6:7], 32
	v_add_f64 v[42:43], v[6:7], v[8:9]
	s_branch .LBB7_1267
.LBB7_1264:
	s_mov_b64 s[4:5], -1
                                        ; implicit-def: $vgpr42_vgpr43
	s_branch .LBB7_1273
.LBB7_1265:
	s_mov_b64 s[4:5], -1
                                        ; implicit-def: $vgpr42_vgpr43
	s_branch .LBB7_1270
.LBB7_1266:
	s_mov_b64 s[4:5], -1
                                        ; implicit-def: $vgpr42_vgpr43
.LBB7_1267:
	s_andn2_b64 vcc, exec, s[4:5]
	s_cbranch_vccnz .LBB7_1269
; %bb.1268:
	global_load_dword v5, v[2:3], off
	s_waitcnt vmcnt(0)
	v_cvt_f64_i32_e32 v[42:43], v5
.LBB7_1269:
	s_mov_b64 s[4:5], 0
.LBB7_1270:
	s_andn2_b64 vcc, exec, s[4:5]
	s_cbranch_vccnz .LBB7_1272
; %bb.1271:
	global_load_sshort v5, v[2:3], off
	s_waitcnt vmcnt(0)
	v_cvt_f64_i32_e32 v[42:43], v5
.LBB7_1272:
	s_mov_b64 s[4:5], 0
.LBB7_1273:
	s_andn2_b64 vcc, exec, s[4:5]
	s_cbranch_vccnz .LBB7_1279
; %bb.1274:
	s_cmp_gt_i32 s14, 0
	s_cbranch_scc0 .LBB7_1276
; %bb.1275:
	global_load_sbyte v5, v[2:3], off
	s_mov_b64 s[4:5], 0
	s_waitcnt vmcnt(0)
	v_cvt_f64_i32_e32 v[42:43], v5
	s_branch .LBB7_1277
.LBB7_1276:
	s_mov_b64 s[4:5], -1
                                        ; implicit-def: $vgpr42_vgpr43
.LBB7_1277:
	s_andn2_b64 vcc, exec, s[4:5]
	s_cbranch_vccnz .LBB7_1279
; %bb.1278:
	global_load_ubyte v2, v[2:3], off
	s_waitcnt vmcnt(0)
	v_cvt_f64_u32_e32 v[42:43], v2
.LBB7_1279:
.LBB7_1280:
	v_add_u32_e32 v4, s15, v4
	v_ashrrev_i32_e32 v3, 31, v4
	v_mov_b32_e32 v5, s39
	v_add_co_u32_e32 v2, vcc, s38, v4
	s_cmp_lt_i32 s14, 11
	v_addc_co_u32_e32 v3, vcc, v5, v3, vcc
	s_cbranch_scc1 .LBB7_1287
; %bb.1281:
	s_cmp_gt_i32 s14, 25
	s_mov_b64 s[6:7], 0
	s_cbranch_scc0 .LBB7_1289
; %bb.1282:
	s_cmp_gt_i32 s14, 28
	s_cbranch_scc0 .LBB7_1290
; %bb.1283:
	s_cmp_gt_i32 s14, 43
	s_cbranch_scc0 .LBB7_1291
; %bb.1284:
	s_cmp_gt_i32 s14, 45
	s_cbranch_scc0 .LBB7_1293
; %bb.1285:
	s_cmp_eq_u32 s14, 46
	s_mov_b64 s[10:11], 0
	s_cbranch_scc0 .LBB7_1294
; %bb.1286:
	global_load_dword v5, v[2:3], off
	s_mov_b64 s[4:5], 0
	s_mov_b64 s[8:9], -1
	s_waitcnt vmcnt(0)
	v_lshlrev_b32_e32 v5, 16, v5
	v_cvt_f64_f32_e32 v[40:41], v5
	s_branch .LBB7_1295
.LBB7_1287:
	s_mov_b64 s[8:9], 0
                                        ; implicit-def: $vgpr40_vgpr41
	s_cbranch_execnz .LBB7_1361
.LBB7_1288:
	s_andn2_b64 vcc, exec, s[8:9]
	s_cbranch_vccnz .LBB7_1972
	s_branch .LBB7_1409
.LBB7_1289:
	s_mov_b64 s[10:11], -1
	s_mov_b64 s[8:9], 0
	s_mov_b64 s[4:5], 0
                                        ; implicit-def: $vgpr40_vgpr41
	s_branch .LBB7_1326
.LBB7_1290:
	s_mov_b64 s[10:11], -1
	s_mov_b64 s[8:9], 0
	s_mov_b64 s[4:5], 0
                                        ; implicit-def: $vgpr40_vgpr41
	s_branch .LBB7_1305
.LBB7_1291:
	s_mov_b64 s[10:11], -1
	s_mov_b64 s[8:9], 0
	s_mov_b64 s[4:5], 0
                                        ; implicit-def: $vgpr40_vgpr41
	s_branch .LBB7_1300
.LBB7_1292:
	s_trap 2
	s_or_b64 s[50:51], s[50:51], exec
	s_cbranch_execz .LBB7_1231
	s_branch .LBB7_1232
.LBB7_1293:
	s_mov_b64 s[10:11], -1
	s_mov_b64 s[8:9], 0
	s_mov_b64 s[4:5], 0
                                        ; implicit-def: $vgpr40_vgpr41
	s_branch .LBB7_1295
.LBB7_1294:
	s_mov_b64 s[4:5], -1
                                        ; implicit-def: $vgpr40_vgpr41
	s_mov_b64 s[8:9], 0
.LBB7_1295:
	s_and_b64 vcc, exec, s[10:11]
	s_cbranch_vccz .LBB7_1299
; %bb.1296:
	s_cmp_eq_u32 s14, 44
	s_cbranch_scc0 .LBB7_1298
; %bb.1297:
	global_load_ubyte v7, v[2:3], off
	s_movk_i32 s8, 0xff
	v_bfrev_b32_e32 v8, 4
	v_mov_b32_e32 v9, 0x7ff80000
	v_bfrev_b32_e32 v10, 28
	s_mov_b64 s[4:5], 0
	s_waitcnt vmcnt(0)
	v_lshlrev_b32_e32 v5, 23, v7
	v_cvt_f64_f32_e32 v[5:6], v5
	v_cmp_ne_u32_e32 vcc, s8, v7
	s_mov_b64 s[8:9], -1
	v_cndmask_b32_e32 v5, v8, v5, vcc
	v_cndmask_b32_e32 v6, v9, v6, vcc
	v_cmp_ne_u32_e32 vcc, 0, v7
	v_cndmask_b32_e32 v41, v10, v6, vcc
	v_cndmask_b32_e32 v40, 0, v5, vcc
	s_branch .LBB7_1299
.LBB7_1298:
	s_mov_b64 s[4:5], -1
                                        ; implicit-def: $vgpr40_vgpr41
.LBB7_1299:
	s_mov_b64 s[10:11], 0
.LBB7_1300:
	s_and_b64 vcc, exec, s[10:11]
	s_cbranch_vccz .LBB7_1304
; %bb.1301:
	s_cmp_eq_u32 s14, 29
	s_cbranch_scc0 .LBB7_1303
; %bb.1302:
	global_load_dwordx2 v[5:6], v[2:3], off
	s_mov_b64 s[4:5], 0
	s_mov_b64 s[8:9], -1
	s_mov_b64 s[10:11], 0
	s_waitcnt vmcnt(0)
	v_cvt_f64_u32_e32 v[6:7], v6
	v_cvt_f64_u32_e32 v[8:9], v5
	v_ldexp_f64 v[6:7], v[6:7], 32
	v_add_f64 v[40:41], v[6:7], v[8:9]
	s_branch .LBB7_1305
.LBB7_1303:
	s_mov_b64 s[4:5], -1
                                        ; implicit-def: $vgpr40_vgpr41
.LBB7_1304:
	s_mov_b64 s[10:11], 0
.LBB7_1305:
	s_and_b64 vcc, exec, s[10:11]
	s_cbranch_vccz .LBB7_1325
; %bb.1306:
	s_cmp_lt_i32 s14, 27
	s_cbranch_scc1 .LBB7_1309
; %bb.1307:
	s_cmp_gt_i32 s14, 27
	s_cbranch_scc0 .LBB7_1310
; %bb.1308:
	global_load_dword v5, v[2:3], off
	s_mov_b64 s[8:9], 0
	s_waitcnt vmcnt(0)
	v_cvt_f64_u32_e32 v[40:41], v5
	s_branch .LBB7_1311
.LBB7_1309:
	s_mov_b64 s[8:9], -1
                                        ; implicit-def: $vgpr40_vgpr41
	s_branch .LBB7_1314
.LBB7_1310:
	s_mov_b64 s[8:9], -1
                                        ; implicit-def: $vgpr40_vgpr41
.LBB7_1311:
	s_andn2_b64 vcc, exec, s[8:9]
	s_cbranch_vccnz .LBB7_1313
; %bb.1312:
	global_load_ushort v5, v[2:3], off
	s_waitcnt vmcnt(0)
	v_cvt_f64_u32_e32 v[40:41], v5
.LBB7_1313:
	s_mov_b64 s[8:9], 0
.LBB7_1314:
	s_andn2_b64 vcc, exec, s[8:9]
	s_cbranch_vccnz .LBB7_1324
; %bb.1315:
	global_load_ubyte v5, v[2:3], off
	s_movk_i32 s8, 0x7f
	s_waitcnt vmcnt(0)
	v_cmp_lt_i16_e32 vcc, s8, v5
	s_mov_b64 s[8:9], 0
	s_and_saveexec_b64 s[10:11], vcc
	s_xor_b64 s[10:11], exec, s[10:11]
	s_cbranch_execz .LBB7_1319
; %bb.1316:
	s_movk_i32 s8, 0x80
	v_cmp_eq_u16_e32 vcc, s8, v5
	s_mov_b64 s[8:9], -1
	s_and_saveexec_b64 s[12:13], vcc
; %bb.1317:
	s_xor_b64 s[8:9], exec, -1
; %bb.1318:
	s_or_b64 exec, exec, s[12:13]
	s_and_b64 s[8:9], s[8:9], exec
.LBB7_1319:
	s_or_saveexec_b64 s[10:11], s[10:11]
	v_bfrev_b32_e32 v40, 4
	v_mov_b32_e32 v41, 0x7ff80000
	s_xor_b64 exec, exec, s[10:11]
; %bb.1320:
	v_cmp_ne_u16_e32 vcc, 0, v5
	v_mov_b32_e32 v40, 0
	s_andn2_b64 s[8:9], s[8:9], exec
	s_and_b64 s[12:13], vcc, exec
	v_mov_b32_e32 v41, 0
	s_or_b64 s[8:9], s[8:9], s[12:13]
; %bb.1321:
	s_or_b64 exec, exec, s[10:11]
	s_and_saveexec_b64 s[10:11], s[8:9]
	s_cbranch_execz .LBB7_1323
; %bb.1322:
	v_lshlrev_b32_e32 v6, 24, v5
	v_and_b32_e32 v5, 0xffff, v5
	v_and_b32_e32 v7, 7, v5
	v_ffbh_u32_e32 v9, v7
	v_min_u32_e32 v9, 32, v9
	v_subrev_u32_e32 v10, 28, v9
	v_bfe_u32 v8, v5, 3, 4
	v_lshlrev_b32_e32 v5, v10, v5
	v_sub_u32_e32 v9, 29, v9
	v_and_b32_e32 v5, 7, v5
	v_cmp_eq_u32_e32 vcc, 0, v8
	v_cndmask_b32_e32 v8, v8, v9, vcc
	v_cndmask_b32_e32 v5, v7, v5, vcc
	v_mov_b32_e32 v7, 0x3b800000
	v_lshlrev_b32_e32 v5, 20, v5
	v_and_b32_e32 v6, 0x80000000, v6
	v_lshl_add_u32 v7, v8, 23, v7
	v_or3_b32 v5, v6, v7, v5
	v_cvt_f64_f32_e32 v[40:41], v5
.LBB7_1323:
	s_or_b64 exec, exec, s[10:11]
.LBB7_1324:
	s_mov_b64 s[8:9], -1
.LBB7_1325:
	s_mov_b64 s[10:11], 0
.LBB7_1326:
	s_and_b64 vcc, exec, s[10:11]
	s_cbranch_vccz .LBB7_1357
; %bb.1327:
	s_cmp_gt_i32 s14, 22
	s_cbranch_scc0 .LBB7_1339
; %bb.1328:
	s_cmp_lt_i32 s14, 24
	s_cbranch_scc1 .LBB7_1340
; %bb.1329:
	s_cmp_gt_i32 s14, 24
	s_cbranch_scc0 .LBB7_1341
; %bb.1330:
	global_load_ubyte v5, v[2:3], off
	s_movk_i32 s6, 0x7f
	s_waitcnt vmcnt(0)
	v_cmp_lt_i16_e32 vcc, s6, v5
	s_mov_b64 s[6:7], 0
	s_and_saveexec_b64 s[8:9], vcc
	s_xor_b64 s[8:9], exec, s[8:9]
	s_cbranch_execz .LBB7_1334
; %bb.1331:
	s_movk_i32 s6, 0x80
	v_cmp_eq_u16_e32 vcc, s6, v5
	s_mov_b64 s[6:7], -1
	s_and_saveexec_b64 s[10:11], vcc
; %bb.1332:
	s_xor_b64 s[6:7], exec, -1
; %bb.1333:
	s_or_b64 exec, exec, s[10:11]
	s_and_b64 s[6:7], s[6:7], exec
.LBB7_1334:
	s_or_saveexec_b64 s[8:9], s[8:9]
	v_bfrev_b32_e32 v40, 4
	v_mov_b32_e32 v41, 0x7ff80000
	s_xor_b64 exec, exec, s[8:9]
; %bb.1335:
	v_cmp_ne_u16_e32 vcc, 0, v5
	v_mov_b32_e32 v40, 0
	s_andn2_b64 s[6:7], s[6:7], exec
	s_and_b64 s[10:11], vcc, exec
	v_mov_b32_e32 v41, 0
	s_or_b64 s[6:7], s[6:7], s[10:11]
; %bb.1336:
	s_or_b64 exec, exec, s[8:9]
	s_and_saveexec_b64 s[8:9], s[6:7]
	s_cbranch_execz .LBB7_1338
; %bb.1337:
	v_lshlrev_b32_e32 v6, 24, v5
	v_and_b32_e32 v5, 0xffff, v5
	v_and_b32_e32 v7, 3, v5
	v_ffbh_u32_e32 v9, v7
	v_min_u32_e32 v9, 32, v9
	v_subrev_u32_e32 v10, 29, v9
	v_bfe_u32 v8, v5, 2, 5
	v_lshlrev_b32_e32 v5, v10, v5
	v_sub_u32_e32 v9, 30, v9
	v_and_b32_e32 v5, 3, v5
	v_cmp_eq_u32_e32 vcc, 0, v8
	v_cndmask_b32_e32 v8, v8, v9, vcc
	v_cndmask_b32_e32 v5, v7, v5, vcc
	v_mov_b32_e32 v7, 0x37800000
	v_lshlrev_b32_e32 v5, 21, v5
	v_and_b32_e32 v6, 0x80000000, v6
	v_lshl_add_u32 v7, v8, 23, v7
	v_or3_b32 v5, v6, v7, v5
	v_cvt_f64_f32_e32 v[40:41], v5
.LBB7_1338:
	s_or_b64 exec, exec, s[8:9]
	s_mov_b64 s[6:7], 0
	s_branch .LBB7_1342
.LBB7_1339:
	s_mov_b64 s[6:7], -1
                                        ; implicit-def: $vgpr40_vgpr41
	s_branch .LBB7_1348
.LBB7_1340:
	s_mov_b64 s[6:7], -1
                                        ; implicit-def: $vgpr40_vgpr41
	s_branch .LBB7_1345
.LBB7_1341:
	s_mov_b64 s[6:7], -1
                                        ; implicit-def: $vgpr40_vgpr41
.LBB7_1342:
	s_and_b64 vcc, exec, s[6:7]
	s_cbranch_vccz .LBB7_1344
; %bb.1343:
	global_load_ubyte v5, v[2:3], off
	s_mov_b32 s6, 0x7f800000
	s_waitcnt vmcnt(0)
	v_lshlrev_b32_e32 v5, 24, v5
	v_and_b32_e32 v6, 0x7f000000, v5
	v_ffbh_u32_e32 v7, v6
	v_min_u32_e32 v7, 32, v7
	v_sub_u32_e64 v7, v7, 4 clamp
	v_lshlrev_b32_e32 v9, v7, v6
	v_lshlrev_b32_e32 v7, 23, v7
	v_lshrrev_b32_e32 v9, 4, v9
	v_add_u32_e32 v8, 0x1000000, v6
	v_sub_u32_e32 v7, v9, v7
	v_ashrrev_i32_e32 v8, 8, v8
	v_add_u32_e32 v7, 0x3c000000, v7
	v_and_or_b32 v7, v8, s6, v7
	v_cmp_ne_u32_e32 vcc, 0, v6
	v_cndmask_b32_e32 v6, 0, v7, vcc
	s_brev_b32 s6, 1
	v_and_or_b32 v5, v5, s6, v6
	v_cvt_f64_f32_e32 v[40:41], v5
.LBB7_1344:
	s_mov_b64 s[6:7], 0
.LBB7_1345:
	s_andn2_b64 vcc, exec, s[6:7]
	s_cbranch_vccnz .LBB7_1347
; %bb.1346:
	global_load_ubyte v5, v[2:3], off
	s_movk_i32 s6, 0x7f00
	s_brev_b32 s7, 16
	s_waitcnt vmcnt(0)
	v_lshlrev_b16_e32 v6, 8, v5
	v_lshlrev_b32_e32 v5, 25, v5
	v_lshrrev_b32_e32 v7, 4, v5
	v_and_or_b32 v8, v6, s6, 0.5
	v_or_b32_e32 v7, 0x70000000, v7
	v_add_f32_e32 v8, -0.5, v8
	v_mul_f32_e32 v7, 0x7800000, v7
	v_cmp_gt_u32_e32 vcc, s7, v5
	v_bfe_i32 v6, v6, 0, 16
	v_cndmask_b32_e32 v5, v7, v8, vcc
	s_brev_b32 s6, 1
	v_and_or_b32 v5, v6, s6, v5
	v_cvt_f64_f32_e32 v[40:41], v5
.LBB7_1347:
	s_mov_b64 s[6:7], 0
	s_mov_b64 s[8:9], -1
.LBB7_1348:
	s_andn2_b64 vcc, exec, s[6:7]
	s_mov_b64 s[6:7], 0
	s_cbranch_vccnz .LBB7_1357
; %bb.1349:
	s_cmp_gt_i32 s14, 14
	s_cbranch_scc0 .LBB7_1352
; %bb.1350:
	s_cmp_eq_u32 s14, 15
	s_cbranch_scc0 .LBB7_1353
; %bb.1351:
	global_load_ushort v5, v[2:3], off
	s_mov_b64 s[4:5], 0
	s_mov_b64 s[8:9], -1
	s_waitcnt vmcnt(0)
	v_lshlrev_b32_e32 v5, 16, v5
	v_cvt_f64_f32_e32 v[40:41], v5
	s_branch .LBB7_1354
.LBB7_1352:
	s_mov_b64 s[10:11], -1
                                        ; implicit-def: $vgpr40_vgpr41
	s_branch .LBB7_1355
.LBB7_1353:
	s_mov_b64 s[4:5], -1
                                        ; implicit-def: $vgpr40_vgpr41
.LBB7_1354:
	s_mov_b64 s[10:11], 0
.LBB7_1355:
	s_and_b64 vcc, exec, s[10:11]
	s_cbranch_vccz .LBB7_1357
; %bb.1356:
	s_cmp_lg_u32 s14, 11
	s_mov_b64 s[6:7], -1
	s_cselect_b64 s[4:5], -1, 0
.LBB7_1357:
	s_and_b64 vcc, exec, s[4:5]
	s_cbranch_vccnz .LBB7_1420
; %bb.1358:
	s_andn2_b64 vcc, exec, s[6:7]
	s_cbranch_vccnz .LBB7_1360
.LBB7_1359:
	global_load_ubyte v5, v[2:3], off
	v_mov_b32_e32 v6, 0x3ff00000
	v_mov_b32_e32 v40, 0
	s_mov_b64 s[8:9], -1
	s_waitcnt vmcnt(0)
	v_cmp_ne_u16_e32 vcc, 0, v5
	v_cndmask_b32_e32 v41, 0, v6, vcc
.LBB7_1360:
	s_branch .LBB7_1288
.LBB7_1361:
	s_cmp_lt_i32 s14, 5
	s_cbranch_scc1 .LBB7_1366
; %bb.1362:
	s_cmp_lt_i32 s14, 8
	s_cbranch_scc1 .LBB7_1367
; %bb.1363:
	;; [unrolled: 3-line block ×3, first 2 shown]
	s_cmp_gt_i32 s14, 9
	s_cbranch_scc0 .LBB7_1369
; %bb.1365:
	global_load_dwordx2 v[40:41], v[2:3], off
	s_mov_b64 s[4:5], 0
	s_branch .LBB7_1370
.LBB7_1366:
	s_mov_b64 s[4:5], -1
                                        ; implicit-def: $vgpr40_vgpr41
	s_branch .LBB7_1388
.LBB7_1367:
	s_mov_b64 s[4:5], -1
                                        ; implicit-def: $vgpr40_vgpr41
	s_branch .LBB7_1376
.LBB7_1368:
	s_mov_b64 s[4:5], -1
                                        ; implicit-def: $vgpr40_vgpr41
	s_branch .LBB7_1373
.LBB7_1369:
	s_mov_b64 s[4:5], -1
                                        ; implicit-def: $vgpr40_vgpr41
.LBB7_1370:
	s_andn2_b64 vcc, exec, s[4:5]
	s_cbranch_vccnz .LBB7_1372
; %bb.1371:
	global_load_dword v5, v[2:3], off
	s_waitcnt vmcnt(0)
	v_cvt_f64_f32_e32 v[40:41], v5
.LBB7_1372:
	s_mov_b64 s[4:5], 0
.LBB7_1373:
	s_andn2_b64 vcc, exec, s[4:5]
	s_cbranch_vccnz .LBB7_1375
; %bb.1374:
	global_load_dword v5, v[2:3], off
	s_waitcnt vmcnt(0)
	v_cvt_f32_f16_e32 v5, v5
	v_cvt_f64_f32_e32 v[40:41], v5
.LBB7_1375:
	s_mov_b64 s[4:5], 0
.LBB7_1376:
	s_andn2_b64 vcc, exec, s[4:5]
	s_cbranch_vccnz .LBB7_1387
; %bb.1377:
	s_cmp_lt_i32 s14, 6
	s_cbranch_scc1 .LBB7_1380
; %bb.1378:
	s_cmp_gt_i32 s14, 6
	s_cbranch_scc0 .LBB7_1381
; %bb.1379:
	global_load_dwordx2 v[40:41], v[2:3], off
	s_mov_b64 s[4:5], 0
	s_branch .LBB7_1382
.LBB7_1380:
	s_mov_b64 s[4:5], -1
                                        ; implicit-def: $vgpr40_vgpr41
	s_branch .LBB7_1385
.LBB7_1381:
	s_mov_b64 s[4:5], -1
                                        ; implicit-def: $vgpr40_vgpr41
.LBB7_1382:
	s_andn2_b64 vcc, exec, s[4:5]
	s_cbranch_vccnz .LBB7_1384
; %bb.1383:
	global_load_dword v5, v[2:3], off
	s_waitcnt vmcnt(0)
	v_cvt_f64_f32_e32 v[40:41], v5
.LBB7_1384:
	s_mov_b64 s[4:5], 0
.LBB7_1385:
	s_andn2_b64 vcc, exec, s[4:5]
	s_cbranch_vccnz .LBB7_1387
; %bb.1386:
	global_load_ushort v5, v[2:3], off
	s_waitcnt vmcnt(0)
	v_cvt_f32_f16_e32 v5, v5
	v_cvt_f64_f32_e32 v[40:41], v5
.LBB7_1387:
	s_mov_b64 s[4:5], 0
.LBB7_1388:
	s_andn2_b64 vcc, exec, s[4:5]
	s_cbranch_vccnz .LBB7_1408
; %bb.1389:
	s_cmp_lt_i32 s14, 2
	s_cbranch_scc1 .LBB7_1393
; %bb.1390:
	s_cmp_lt_i32 s14, 3
	s_cbranch_scc1 .LBB7_1394
; %bb.1391:
	s_cmp_gt_i32 s14, 3
	s_cbranch_scc0 .LBB7_1395
; %bb.1392:
	global_load_dwordx2 v[5:6], v[2:3], off
	s_mov_b64 s[4:5], 0
	s_waitcnt vmcnt(0)
	v_cvt_f64_i32_e32 v[6:7], v6
	v_cvt_f64_u32_e32 v[8:9], v5
	v_ldexp_f64 v[6:7], v[6:7], 32
	v_add_f64 v[40:41], v[6:7], v[8:9]
	s_branch .LBB7_1396
.LBB7_1393:
	s_mov_b64 s[4:5], -1
                                        ; implicit-def: $vgpr40_vgpr41
	s_branch .LBB7_1402
.LBB7_1394:
	s_mov_b64 s[4:5], -1
                                        ; implicit-def: $vgpr40_vgpr41
	s_branch .LBB7_1399
.LBB7_1395:
	s_mov_b64 s[4:5], -1
                                        ; implicit-def: $vgpr40_vgpr41
.LBB7_1396:
	s_andn2_b64 vcc, exec, s[4:5]
	s_cbranch_vccnz .LBB7_1398
; %bb.1397:
	global_load_dword v5, v[2:3], off
	s_waitcnt vmcnt(0)
	v_cvt_f64_i32_e32 v[40:41], v5
.LBB7_1398:
	s_mov_b64 s[4:5], 0
.LBB7_1399:
	s_andn2_b64 vcc, exec, s[4:5]
	s_cbranch_vccnz .LBB7_1401
; %bb.1400:
	global_load_sshort v5, v[2:3], off
	s_waitcnt vmcnt(0)
	v_cvt_f64_i32_e32 v[40:41], v5
.LBB7_1401:
	s_mov_b64 s[4:5], 0
.LBB7_1402:
	s_andn2_b64 vcc, exec, s[4:5]
	s_cbranch_vccnz .LBB7_1408
; %bb.1403:
	s_cmp_gt_i32 s14, 0
	s_cbranch_scc0 .LBB7_1405
; %bb.1404:
	global_load_sbyte v5, v[2:3], off
	s_mov_b64 s[4:5], 0
	s_waitcnt vmcnt(0)
	v_cvt_f64_i32_e32 v[40:41], v5
	s_branch .LBB7_1406
.LBB7_1405:
	s_mov_b64 s[4:5], -1
                                        ; implicit-def: $vgpr40_vgpr41
.LBB7_1406:
	s_andn2_b64 vcc, exec, s[4:5]
	s_cbranch_vccnz .LBB7_1408
; %bb.1407:
	global_load_ubyte v2, v[2:3], off
	s_waitcnt vmcnt(0)
	v_cvt_f64_u32_e32 v[40:41], v2
.LBB7_1408:
.LBB7_1409:
	v_add_u32_e32 v2, s15, v4
	v_ashrrev_i32_e32 v3, 31, v2
	v_mov_b32_e32 v4, s39
	v_add_co_u32_e32 v2, vcc, s38, v2
	s_cmp_lt_i32 s14, 11
	v_addc_co_u32_e32 v3, vcc, v4, v3, vcc
	s_cbranch_scc1 .LBB7_1416
; %bb.1410:
	s_cmp_gt_i32 s14, 25
	s_mov_b64 s[6:7], 0
	s_cbranch_scc0 .LBB7_1417
; %bb.1411:
	s_cmp_gt_i32 s14, 28
	s_cbranch_scc0 .LBB7_1418
; %bb.1412:
	s_cmp_gt_i32 s14, 43
	;; [unrolled: 3-line block ×3, first 2 shown]
	s_cbranch_scc0 .LBB7_1421
; %bb.1414:
	s_cmp_eq_u32 s14, 46
	s_mov_b64 s[10:11], 0
	s_cbranch_scc0 .LBB7_1422
; %bb.1415:
	global_load_dword v4, v[2:3], off
	s_mov_b64 s[4:5], 0
	s_mov_b64 s[8:9], -1
	s_waitcnt vmcnt(0)
	v_lshlrev_b32_e32 v4, 16, v4
	v_cvt_f64_f32_e32 v[38:39], v4
	s_branch .LBB7_1423
.LBB7_1416:
	s_mov_b64 s[4:5], -1
	s_mov_b64 s[8:9], 0
                                        ; implicit-def: $vgpr38_vgpr39
	s_branch .LBB7_1489
.LBB7_1417:
	s_mov_b64 s[10:11], -1
	s_mov_b64 s[8:9], 0
	s_mov_b64 s[4:5], 0
                                        ; implicit-def: $vgpr38_vgpr39
	s_branch .LBB7_1454
.LBB7_1418:
	s_mov_b64 s[10:11], -1
	s_mov_b64 s[8:9], 0
	s_mov_b64 s[4:5], 0
                                        ; implicit-def: $vgpr38_vgpr39
	s_branch .LBB7_1433
.LBB7_1419:
	s_mov_b64 s[10:11], -1
	s_mov_b64 s[8:9], 0
	s_mov_b64 s[4:5], 0
                                        ; implicit-def: $vgpr38_vgpr39
	s_branch .LBB7_1428
.LBB7_1420:
	s_trap 2
	s_or_b64 s[50:51], s[50:51], exec
	s_cbranch_execz .LBB7_1359
	s_branch .LBB7_1360
.LBB7_1421:
	s_mov_b64 s[10:11], -1
	s_mov_b64 s[8:9], 0
	s_mov_b64 s[4:5], 0
                                        ; implicit-def: $vgpr38_vgpr39
	s_branch .LBB7_1423
.LBB7_1422:
	s_mov_b64 s[4:5], -1
                                        ; implicit-def: $vgpr38_vgpr39
	s_mov_b64 s[8:9], 0
.LBB7_1423:
	s_and_b64 vcc, exec, s[10:11]
	s_cbranch_vccz .LBB7_1427
; %bb.1424:
	s_cmp_eq_u32 s14, 44
	s_cbranch_scc0 .LBB7_1426
; %bb.1425:
	global_load_ubyte v6, v[2:3], off
	s_movk_i32 s8, 0xff
	v_bfrev_b32_e32 v7, 4
	v_mov_b32_e32 v8, 0x7ff80000
	v_bfrev_b32_e32 v9, 28
	s_mov_b64 s[4:5], 0
	s_waitcnt vmcnt(0)
	v_lshlrev_b32_e32 v4, 23, v6
	v_cvt_f64_f32_e32 v[4:5], v4
	v_cmp_ne_u32_e32 vcc, s8, v6
	s_mov_b64 s[8:9], -1
	v_cndmask_b32_e32 v4, v7, v4, vcc
	v_cndmask_b32_e32 v5, v8, v5, vcc
	v_cmp_ne_u32_e32 vcc, 0, v6
	v_cndmask_b32_e32 v39, v9, v5, vcc
	v_cndmask_b32_e32 v38, 0, v4, vcc
	s_branch .LBB7_1427
.LBB7_1426:
	s_mov_b64 s[4:5], -1
                                        ; implicit-def: $vgpr38_vgpr39
.LBB7_1427:
	s_mov_b64 s[10:11], 0
.LBB7_1428:
	s_and_b64 vcc, exec, s[10:11]
	s_cbranch_vccz .LBB7_1432
; %bb.1429:
	s_cmp_eq_u32 s14, 29
	s_cbranch_scc0 .LBB7_1431
; %bb.1430:
	global_load_dwordx2 v[4:5], v[2:3], off
	s_mov_b64 s[4:5], 0
	s_mov_b64 s[8:9], -1
	s_mov_b64 s[10:11], 0
	s_waitcnt vmcnt(0)
	v_cvt_f64_u32_e32 v[5:6], v5
	v_cvt_f64_u32_e32 v[7:8], v4
	v_ldexp_f64 v[5:6], v[5:6], 32
	v_add_f64 v[38:39], v[5:6], v[7:8]
	s_branch .LBB7_1433
.LBB7_1431:
	s_mov_b64 s[4:5], -1
                                        ; implicit-def: $vgpr38_vgpr39
.LBB7_1432:
	s_mov_b64 s[10:11], 0
.LBB7_1433:
	s_and_b64 vcc, exec, s[10:11]
	s_cbranch_vccz .LBB7_1453
; %bb.1434:
	s_cmp_lt_i32 s14, 27
	s_cbranch_scc1 .LBB7_1437
; %bb.1435:
	s_cmp_gt_i32 s14, 27
	s_cbranch_scc0 .LBB7_1438
; %bb.1436:
	global_load_dword v4, v[2:3], off
	s_mov_b64 s[8:9], 0
	s_waitcnt vmcnt(0)
	v_cvt_f64_u32_e32 v[38:39], v4
	s_branch .LBB7_1439
.LBB7_1437:
	s_mov_b64 s[8:9], -1
                                        ; implicit-def: $vgpr38_vgpr39
	s_branch .LBB7_1442
.LBB7_1438:
	s_mov_b64 s[8:9], -1
                                        ; implicit-def: $vgpr38_vgpr39
.LBB7_1439:
	s_andn2_b64 vcc, exec, s[8:9]
	s_cbranch_vccnz .LBB7_1441
; %bb.1440:
	global_load_ushort v4, v[2:3], off
	s_waitcnt vmcnt(0)
	v_cvt_f64_u32_e32 v[38:39], v4
.LBB7_1441:
	s_mov_b64 s[8:9], 0
.LBB7_1442:
	s_andn2_b64 vcc, exec, s[8:9]
	s_cbranch_vccnz .LBB7_1452
; %bb.1443:
	global_load_ubyte v4, v[2:3], off
	s_movk_i32 s8, 0x7f
	s_waitcnt vmcnt(0)
	v_cmp_lt_i16_e32 vcc, s8, v4
	s_mov_b64 s[8:9], 0
	s_and_saveexec_b64 s[10:11], vcc
	s_xor_b64 s[10:11], exec, s[10:11]
	s_cbranch_execz .LBB7_1447
; %bb.1444:
	s_movk_i32 s8, 0x80
	v_cmp_eq_u16_e32 vcc, s8, v4
	s_mov_b64 s[8:9], -1
	s_and_saveexec_b64 s[12:13], vcc
; %bb.1445:
	s_xor_b64 s[8:9], exec, -1
; %bb.1446:
	s_or_b64 exec, exec, s[12:13]
	s_and_b64 s[8:9], s[8:9], exec
.LBB7_1447:
	s_or_saveexec_b64 s[10:11], s[10:11]
	v_bfrev_b32_e32 v38, 4
	v_mov_b32_e32 v39, 0x7ff80000
	s_xor_b64 exec, exec, s[10:11]
; %bb.1448:
	v_cmp_ne_u16_e32 vcc, 0, v4
	v_mov_b32_e32 v38, 0
	s_andn2_b64 s[8:9], s[8:9], exec
	s_and_b64 s[12:13], vcc, exec
	v_mov_b32_e32 v39, 0
	s_or_b64 s[8:9], s[8:9], s[12:13]
; %bb.1449:
	s_or_b64 exec, exec, s[10:11]
	s_and_saveexec_b64 s[10:11], s[8:9]
	s_cbranch_execz .LBB7_1451
; %bb.1450:
	v_lshlrev_b32_e32 v5, 24, v4
	v_and_b32_e32 v4, 0xffff, v4
	v_and_b32_e32 v6, 7, v4
	v_ffbh_u32_e32 v8, v6
	v_min_u32_e32 v8, 32, v8
	v_subrev_u32_e32 v9, 28, v8
	v_bfe_u32 v7, v4, 3, 4
	v_lshlrev_b32_e32 v4, v9, v4
	v_sub_u32_e32 v8, 29, v8
	v_and_b32_e32 v4, 7, v4
	v_cmp_eq_u32_e32 vcc, 0, v7
	v_cndmask_b32_e32 v7, v7, v8, vcc
	v_cndmask_b32_e32 v4, v6, v4, vcc
	v_mov_b32_e32 v6, 0x3b800000
	v_lshlrev_b32_e32 v4, 20, v4
	v_and_b32_e32 v5, 0x80000000, v5
	v_lshl_add_u32 v6, v7, 23, v6
	v_or3_b32 v4, v5, v6, v4
	v_cvt_f64_f32_e32 v[38:39], v4
.LBB7_1451:
	s_or_b64 exec, exec, s[10:11]
.LBB7_1452:
	s_mov_b64 s[8:9], -1
.LBB7_1453:
	s_mov_b64 s[10:11], 0
.LBB7_1454:
	s_and_b64 vcc, exec, s[10:11]
	s_cbranch_vccz .LBB7_1485
; %bb.1455:
	s_cmp_gt_i32 s14, 22
	s_cbranch_scc0 .LBB7_1467
; %bb.1456:
	s_cmp_lt_i32 s14, 24
	s_cbranch_scc1 .LBB7_1468
; %bb.1457:
	s_cmp_gt_i32 s14, 24
	s_cbranch_scc0 .LBB7_1469
; %bb.1458:
	global_load_ubyte v4, v[2:3], off
	s_movk_i32 s6, 0x7f
	s_waitcnt vmcnt(0)
	v_cmp_lt_i16_e32 vcc, s6, v4
	s_mov_b64 s[6:7], 0
	s_and_saveexec_b64 s[8:9], vcc
	s_xor_b64 s[8:9], exec, s[8:9]
	s_cbranch_execz .LBB7_1462
; %bb.1459:
	s_movk_i32 s6, 0x80
	v_cmp_eq_u16_e32 vcc, s6, v4
	s_mov_b64 s[6:7], -1
	s_and_saveexec_b64 s[10:11], vcc
; %bb.1460:
	s_xor_b64 s[6:7], exec, -1
; %bb.1461:
	s_or_b64 exec, exec, s[10:11]
	s_and_b64 s[6:7], s[6:7], exec
.LBB7_1462:
	s_or_saveexec_b64 s[8:9], s[8:9]
	v_bfrev_b32_e32 v38, 4
	v_mov_b32_e32 v39, 0x7ff80000
	s_xor_b64 exec, exec, s[8:9]
; %bb.1463:
	v_cmp_ne_u16_e32 vcc, 0, v4
	v_mov_b32_e32 v38, 0
	s_andn2_b64 s[6:7], s[6:7], exec
	s_and_b64 s[10:11], vcc, exec
	v_mov_b32_e32 v39, 0
	s_or_b64 s[6:7], s[6:7], s[10:11]
; %bb.1464:
	s_or_b64 exec, exec, s[8:9]
	s_and_saveexec_b64 s[8:9], s[6:7]
	s_cbranch_execz .LBB7_1466
; %bb.1465:
	v_lshlrev_b32_e32 v5, 24, v4
	v_and_b32_e32 v4, 0xffff, v4
	v_and_b32_e32 v6, 3, v4
	v_ffbh_u32_e32 v8, v6
	v_min_u32_e32 v8, 32, v8
	v_subrev_u32_e32 v9, 29, v8
	v_bfe_u32 v7, v4, 2, 5
	v_lshlrev_b32_e32 v4, v9, v4
	v_sub_u32_e32 v8, 30, v8
	v_and_b32_e32 v4, 3, v4
	v_cmp_eq_u32_e32 vcc, 0, v7
	v_cndmask_b32_e32 v7, v7, v8, vcc
	v_cndmask_b32_e32 v4, v6, v4, vcc
	v_mov_b32_e32 v6, 0x37800000
	v_lshlrev_b32_e32 v4, 21, v4
	v_and_b32_e32 v5, 0x80000000, v5
	v_lshl_add_u32 v6, v7, 23, v6
	v_or3_b32 v4, v5, v6, v4
	v_cvt_f64_f32_e32 v[38:39], v4
.LBB7_1466:
	s_or_b64 exec, exec, s[8:9]
	s_mov_b64 s[6:7], 0
	s_branch .LBB7_1470
.LBB7_1467:
	s_mov_b64 s[6:7], -1
                                        ; implicit-def: $vgpr38_vgpr39
	s_branch .LBB7_1476
.LBB7_1468:
	s_mov_b64 s[6:7], -1
                                        ; implicit-def: $vgpr38_vgpr39
	s_branch .LBB7_1473
.LBB7_1469:
	s_mov_b64 s[6:7], -1
                                        ; implicit-def: $vgpr38_vgpr39
.LBB7_1470:
	s_and_b64 vcc, exec, s[6:7]
	s_cbranch_vccz .LBB7_1472
; %bb.1471:
	global_load_ubyte v4, v[2:3], off
	s_mov_b32 s6, 0x7f800000
	s_waitcnt vmcnt(0)
	v_lshlrev_b32_e32 v4, 24, v4
	v_and_b32_e32 v5, 0x7f000000, v4
	v_ffbh_u32_e32 v6, v5
	v_min_u32_e32 v6, 32, v6
	v_sub_u32_e64 v6, v6, 4 clamp
	v_lshlrev_b32_e32 v8, v6, v5
	v_lshlrev_b32_e32 v6, 23, v6
	v_lshrrev_b32_e32 v8, 4, v8
	v_add_u32_e32 v7, 0x1000000, v5
	v_sub_u32_e32 v6, v8, v6
	v_ashrrev_i32_e32 v7, 8, v7
	v_add_u32_e32 v6, 0x3c000000, v6
	v_and_or_b32 v6, v7, s6, v6
	v_cmp_ne_u32_e32 vcc, 0, v5
	v_cndmask_b32_e32 v5, 0, v6, vcc
	s_brev_b32 s6, 1
	v_and_or_b32 v4, v4, s6, v5
	v_cvt_f64_f32_e32 v[38:39], v4
.LBB7_1472:
	s_mov_b64 s[6:7], 0
.LBB7_1473:
	s_andn2_b64 vcc, exec, s[6:7]
	s_cbranch_vccnz .LBB7_1475
; %bb.1474:
	global_load_ubyte v4, v[2:3], off
	s_movk_i32 s6, 0x7f00
	s_brev_b32 s7, 16
	s_waitcnt vmcnt(0)
	v_lshlrev_b16_e32 v5, 8, v4
	v_lshlrev_b32_e32 v4, 25, v4
	v_lshrrev_b32_e32 v6, 4, v4
	v_and_or_b32 v7, v5, s6, 0.5
	v_or_b32_e32 v6, 0x70000000, v6
	v_add_f32_e32 v7, -0.5, v7
	v_mul_f32_e32 v6, 0x7800000, v6
	v_cmp_gt_u32_e32 vcc, s7, v4
	v_bfe_i32 v5, v5, 0, 16
	v_cndmask_b32_e32 v4, v6, v7, vcc
	s_brev_b32 s6, 1
	v_and_or_b32 v4, v5, s6, v4
	v_cvt_f64_f32_e32 v[38:39], v4
.LBB7_1475:
	s_mov_b64 s[6:7], 0
	s_mov_b64 s[8:9], -1
.LBB7_1476:
	s_andn2_b64 vcc, exec, s[6:7]
	s_mov_b64 s[6:7], 0
	s_cbranch_vccnz .LBB7_1485
; %bb.1477:
	s_cmp_gt_i32 s14, 14
	s_cbranch_scc0 .LBB7_1480
; %bb.1478:
	s_cmp_eq_u32 s14, 15
	s_cbranch_scc0 .LBB7_1481
; %bb.1479:
	global_load_ushort v4, v[2:3], off
	s_mov_b64 s[4:5], 0
	s_mov_b64 s[8:9], -1
	s_waitcnt vmcnt(0)
	v_lshlrev_b32_e32 v4, 16, v4
	v_cvt_f64_f32_e32 v[38:39], v4
	s_branch .LBB7_1482
.LBB7_1480:
	s_mov_b64 s[10:11], -1
                                        ; implicit-def: $vgpr38_vgpr39
	s_branch .LBB7_1483
.LBB7_1481:
	s_mov_b64 s[4:5], -1
                                        ; implicit-def: $vgpr38_vgpr39
.LBB7_1482:
	s_mov_b64 s[10:11], 0
.LBB7_1483:
	s_and_b64 vcc, exec, s[10:11]
	s_cbranch_vccz .LBB7_1485
; %bb.1484:
	s_cmp_lg_u32 s14, 11
	s_mov_b64 s[6:7], -1
	s_cselect_b64 s[4:5], -1, 0
.LBB7_1485:
	s_and_b64 vcc, exec, s[4:5]
	s_cbranch_vccnz .LBB7_2018
; %bb.1486:
	s_andn2_b64 vcc, exec, s[6:7]
	s_cbranch_vccnz .LBB7_1488
.LBB7_1487:
	global_load_ubyte v4, v[2:3], off
	v_mov_b32_e32 v5, 0x3ff00000
	v_mov_b32_e32 v38, 0
	s_mov_b64 s[8:9], -1
	s_waitcnt vmcnt(0)
	v_cmp_ne_u16_e32 vcc, 0, v4
	v_cndmask_b32_e32 v39, 0, v5, vcc
.LBB7_1488:
	s_mov_b64 s[4:5], 0
.LBB7_1489:
	s_and_b64 vcc, exec, s[4:5]
	s_cbranch_vccz .LBB7_1538
; %bb.1490:
	s_cmp_lt_i32 s14, 5
	s_cbranch_scc1 .LBB7_1495
; %bb.1491:
	s_cmp_lt_i32 s14, 8
	s_cbranch_scc1 .LBB7_1496
	;; [unrolled: 3-line block ×3, first 2 shown]
; %bb.1493:
	s_cmp_gt_i32 s14, 9
	s_cbranch_scc0 .LBB7_1498
; %bb.1494:
	global_load_dwordx2 v[38:39], v[2:3], off
	s_mov_b64 s[4:5], 0
	s_branch .LBB7_1499
.LBB7_1495:
	s_mov_b64 s[4:5], -1
                                        ; implicit-def: $vgpr38_vgpr39
	s_branch .LBB7_1517
.LBB7_1496:
	s_mov_b64 s[4:5], -1
                                        ; implicit-def: $vgpr38_vgpr39
	s_branch .LBB7_1505
.LBB7_1497:
	s_mov_b64 s[4:5], -1
                                        ; implicit-def: $vgpr38_vgpr39
	s_branch .LBB7_1502
.LBB7_1498:
	s_mov_b64 s[4:5], -1
                                        ; implicit-def: $vgpr38_vgpr39
.LBB7_1499:
	s_andn2_b64 vcc, exec, s[4:5]
	s_cbranch_vccnz .LBB7_1501
; %bb.1500:
	global_load_dword v4, v[2:3], off
	s_waitcnt vmcnt(0)
	v_cvt_f64_f32_e32 v[38:39], v4
.LBB7_1501:
	s_mov_b64 s[4:5], 0
.LBB7_1502:
	s_andn2_b64 vcc, exec, s[4:5]
	s_cbranch_vccnz .LBB7_1504
; %bb.1503:
	global_load_dword v4, v[2:3], off
	s_waitcnt vmcnt(0)
	v_cvt_f32_f16_e32 v4, v4
	v_cvt_f64_f32_e32 v[38:39], v4
.LBB7_1504:
	s_mov_b64 s[4:5], 0
.LBB7_1505:
	s_andn2_b64 vcc, exec, s[4:5]
	s_cbranch_vccnz .LBB7_1516
; %bb.1506:
	s_cmp_lt_i32 s14, 6
	s_cbranch_scc1 .LBB7_1509
; %bb.1507:
	s_cmp_gt_i32 s14, 6
	s_cbranch_scc0 .LBB7_1510
; %bb.1508:
	global_load_dwordx2 v[38:39], v[2:3], off
	s_mov_b64 s[4:5], 0
	s_branch .LBB7_1511
.LBB7_1509:
	s_mov_b64 s[4:5], -1
                                        ; implicit-def: $vgpr38_vgpr39
	s_branch .LBB7_1514
.LBB7_1510:
	s_mov_b64 s[4:5], -1
                                        ; implicit-def: $vgpr38_vgpr39
.LBB7_1511:
	s_andn2_b64 vcc, exec, s[4:5]
	s_cbranch_vccnz .LBB7_1513
; %bb.1512:
	global_load_dword v4, v[2:3], off
	s_waitcnt vmcnt(0)
	v_cvt_f64_f32_e32 v[38:39], v4
.LBB7_1513:
	s_mov_b64 s[4:5], 0
.LBB7_1514:
	s_andn2_b64 vcc, exec, s[4:5]
	s_cbranch_vccnz .LBB7_1516
; %bb.1515:
	global_load_ushort v4, v[2:3], off
	s_waitcnt vmcnt(0)
	v_cvt_f32_f16_e32 v4, v4
	v_cvt_f64_f32_e32 v[38:39], v4
.LBB7_1516:
	s_mov_b64 s[4:5], 0
.LBB7_1517:
	s_andn2_b64 vcc, exec, s[4:5]
	s_cbranch_vccnz .LBB7_1537
; %bb.1518:
	s_cmp_lt_i32 s14, 2
	s_cbranch_scc1 .LBB7_1522
; %bb.1519:
	s_cmp_lt_i32 s14, 3
	s_cbranch_scc1 .LBB7_1523
; %bb.1520:
	s_cmp_gt_i32 s14, 3
	s_cbranch_scc0 .LBB7_1524
; %bb.1521:
	global_load_dwordx2 v[4:5], v[2:3], off
	s_mov_b64 s[4:5], 0
	s_waitcnt vmcnt(0)
	v_cvt_f64_i32_e32 v[5:6], v5
	v_cvt_f64_u32_e32 v[7:8], v4
	v_ldexp_f64 v[5:6], v[5:6], 32
	v_add_f64 v[38:39], v[5:6], v[7:8]
	s_branch .LBB7_1525
.LBB7_1522:
	s_mov_b64 s[4:5], -1
                                        ; implicit-def: $vgpr38_vgpr39
	s_branch .LBB7_1531
.LBB7_1523:
	s_mov_b64 s[4:5], -1
                                        ; implicit-def: $vgpr38_vgpr39
	s_branch .LBB7_1528
.LBB7_1524:
	s_mov_b64 s[4:5], -1
                                        ; implicit-def: $vgpr38_vgpr39
.LBB7_1525:
	s_andn2_b64 vcc, exec, s[4:5]
	s_cbranch_vccnz .LBB7_1527
; %bb.1526:
	global_load_dword v4, v[2:3], off
	s_waitcnt vmcnt(0)
	v_cvt_f64_i32_e32 v[38:39], v4
.LBB7_1527:
	s_mov_b64 s[4:5], 0
.LBB7_1528:
	s_andn2_b64 vcc, exec, s[4:5]
	s_cbranch_vccnz .LBB7_1530
; %bb.1529:
	global_load_sshort v4, v[2:3], off
	s_waitcnt vmcnt(0)
	v_cvt_f64_i32_e32 v[38:39], v4
.LBB7_1530:
	s_mov_b64 s[4:5], 0
.LBB7_1531:
	s_andn2_b64 vcc, exec, s[4:5]
	s_cbranch_vccnz .LBB7_1537
; %bb.1532:
	s_cmp_gt_i32 s14, 0
	s_cbranch_scc0 .LBB7_1534
; %bb.1533:
	global_load_sbyte v4, v[2:3], off
	s_mov_b64 s[4:5], 0
	s_waitcnt vmcnt(0)
	v_cvt_f64_i32_e32 v[38:39], v4
	s_branch .LBB7_1535
.LBB7_1534:
	s_mov_b64 s[4:5], -1
                                        ; implicit-def: $vgpr38_vgpr39
.LBB7_1535:
	s_andn2_b64 vcc, exec, s[4:5]
	s_cbranch_vccnz .LBB7_1537
; %bb.1536:
	global_load_ubyte v2, v[2:3], off
	s_waitcnt vmcnt(0)
	v_cvt_f64_u32_e32 v[38:39], v2
.LBB7_1537:
	s_mov_b64 s[8:9], -1
.LBB7_1538:
	s_andn2_b64 vcc, exec, s[8:9]
	s_cbranch_vccnz .LBB7_1972
; %bb.1539:
	s_getpc_b64 s[4:5]
	s_add_u32 s4, s4, _ZZZZN2at6native12_GLOBAL__N_121bessel_j1_kernel_cudaERNS_18TensorIteratorBaseEENKUlvE_clEvENKUlvE_clEvENKUldE_clEd@rel32@lo+4
	s_addc_u32 s5, s5, _ZZZZN2at6native12_GLOBAL__N_121bessel_j1_kernel_cudaERNS_18TensorIteratorBaseEENKUlvE_clEvENKUlvE_clEvENKUldE_clEd@rel32@hi+12
	s_swappc_b64 s[30:31], s[4:5]
	v_mul_lo_u32 v44, s34, v44
	v_mov_b32_e32 v3, s37
	s_and_b32 s52, s33, 0xff
	s_cmp_lt_i32 s52, 11
	v_ashrrev_i32_e32 v2, 31, v44
	v_add_co_u32_e32 v4, vcc, s36, v44
	v_addc_co_u32_e32 v5, vcc, v3, v2, vcc
	s_cbranch_scc1 .LBB7_1617
; %bb.1540:
	s_and_b32 s14, 0xffff, s52
	s_mov_b64 s[10:11], -1
	s_mov_b64 s[6:7], 0
	s_cmp_gt_i32 s14, 25
	s_mov_b64 s[8:9], 0
	s_mov_b64 s[4:5], 0
	s_cbranch_scc0 .LBB7_1573
; %bb.1541:
	s_cmp_gt_i32 s14, 28
	s_cbranch_scc0 .LBB7_1556
; %bb.1542:
	s_cmp_gt_i32 s14, 43
	;; [unrolled: 3-line block ×3, first 2 shown]
	s_cbranch_scc0 .LBB7_1546
; %bb.1544:
	s_mov_b64 s[4:5], -1
	s_mov_b64 s[10:11], 0
	s_cmp_eq_u32 s14, 46
	s_cbranch_scc0 .LBB7_1546
; %bb.1545:
	v_cvt_f32_f64_e32 v2, v[0:1]
	s_movk_i32 s4, 0x7fff
	v_mov_b32_e32 v3, 0x7fc0
	s_mov_b64 s[8:9], -1
	v_bfe_u32 v6, v2, 16, 1
	v_cmp_o_f32_e32 vcc, v2, v2
	v_add3_u32 v2, v2, v6, s4
	v_cndmask_b32_sdwa v2, v3, v2, vcc dst_sel:DWORD dst_unused:UNUSED_PAD src0_sel:DWORD src1_sel:WORD_1
	global_store_dword v[4:5], v2, off
	s_mov_b64 s[4:5], 0
.LBB7_1546:
	s_and_b64 vcc, exec, s[10:11]
	s_cbranch_vccz .LBB7_1551
; %bb.1547:
	s_cmp_eq_u32 s14, 44
	s_mov_b64 s[4:5], -1
	s_cbranch_scc0 .LBB7_1551
; %bb.1548:
	v_cvt_f32_f64_e32 v2, v[0:1]
	s_movk_i32 s4, 0xff
	v_mov_b32_e32 v6, 0xff
	v_bfe_u32 v3, v2, 23, 8
	v_cmp_ne_u32_e32 vcc, s4, v3
	s_and_saveexec_b64 s[8:9], vcc
; %bb.1549:
	s_mov_b32 s4, 0x3fffff
	v_lshrrev_b32_e32 v6, 23, v2
	v_and_b32_e32 v7, 0x400000, v2
	v_and_or_b32 v2, v2, s4, v3
	v_cmp_ne_u32_e32 vcc, 0, v7
	v_cmp_ne_u32_e64 s[4:5], 0, v2
	s_and_b64 s[4:5], vcc, s[4:5]
	v_cndmask_b32_e64 v2, 0, 1, s[4:5]
	v_add_u32_e32 v6, v6, v2
; %bb.1550:
	s_or_b64 exec, exec, s[8:9]
	s_mov_b64 s[4:5], 0
	s_mov_b64 s[8:9], -1
	global_store_byte v[4:5], v6, off
.LBB7_1551:
	s_mov_b64 s[10:11], 0
.LBB7_1552:
	s_and_b64 vcc, exec, s[10:11]
	s_cbranch_vccz .LBB7_1555
; %bb.1553:
	s_cmp_eq_u32 s14, 29
	s_mov_b64 s[4:5], -1
	s_cbranch_scc0 .LBB7_1555
; %bb.1554:
	v_trunc_f64_e32 v[2:3], v[0:1]
	s_movk_i32 s4, 0xffe0
	s_mov_b64 s[8:9], -1
	v_ldexp_f64 v[6:7], v[2:3], s4
	s_mov_b32 s4, 0
	s_mov_b32 s5, 0xc1f00000
	v_floor_f64_e32 v[6:7], v[6:7]
	v_fma_f64 v[2:3], v[6:7], s[4:5], v[2:3]
	v_cvt_u32_f64_e32 v7, v[6:7]
	s_mov_b64 s[4:5], 0
	v_cvt_u32_f64_e32 v6, v[2:3]
	global_store_dwordx2 v[4:5], v[6:7], off
.LBB7_1555:
	s_mov_b64 s[10:11], 0
.LBB7_1556:
	s_and_b64 vcc, exec, s[10:11]
	s_cbranch_vccz .LBB7_1572
; %bb.1557:
	s_cmp_lt_i32 s14, 27
	s_mov_b64 s[8:9], -1
	s_cbranch_scc1 .LBB7_1563
; %bb.1558:
	v_cvt_u32_f64_e32 v2, v[0:1]
	s_cmp_gt_i32 s14, 27
	s_cbranch_scc0 .LBB7_1560
; %bb.1559:
	s_mov_b64 s[8:9], 0
	global_store_dword v[4:5], v2, off
.LBB7_1560:
	s_andn2_b64 vcc, exec, s[8:9]
	s_cbranch_vccnz .LBB7_1562
; %bb.1561:
	global_store_short v[4:5], v2, off
.LBB7_1562:
	s_mov_b64 s[8:9], 0
.LBB7_1563:
	s_andn2_b64 vcc, exec, s[8:9]
	s_cbranch_vccnz .LBB7_1571
; %bb.1564:
	v_cvt_f32_f64_e32 v2, v[0:1]
	s_mov_b32 s8, 0x43800000
	v_mov_b32_e32 v6, 0x80
	v_and_b32_e32 v3, 0x7fffffff, v2
	v_cmp_gt_u32_e32 vcc, s8, v3
	s_and_saveexec_b64 s[8:9], vcc
	s_cbranch_execz .LBB7_1570
; %bb.1565:
	s_mov_b32 s10, 0x3bffffff
	v_cmp_lt_u32_e32 vcc, s10, v3
	s_mov_b64 s[10:11], 0
                                        ; implicit-def: $vgpr3
	s_and_saveexec_b64 s[12:13], vcc
	s_xor_b64 s[12:13], exec, s[12:13]
	s_cbranch_execz .LBB7_2019
; %bb.1566:
	v_bfe_u32 v3, v2, 20, 1
	s_mov_b32 s15, 0x487ffff
	v_add3_u32 v3, v2, v3, s15
	s_mov_b64 s[10:11], exec
	v_lshrrev_b32_e32 v3, 20, v3
	s_andn2_saveexec_b64 s[12:13], s[12:13]
	s_cbranch_execnz .LBB7_2020
.LBB7_1567:
	s_or_b64 exec, exec, s[12:13]
	v_mov_b32_e32 v6, 0
	s_and_saveexec_b64 s[12:13], s[10:11]
.LBB7_1568:
	v_lshrrev_b32_e32 v2, 24, v2
	s_movk_i32 s10, 0x80
	v_and_or_b32 v6, v2, s10, v3
.LBB7_1569:
	s_or_b64 exec, exec, s[12:13]
.LBB7_1570:
	s_or_b64 exec, exec, s[8:9]
	global_store_byte v[4:5], v6, off
.LBB7_1571:
	s_mov_b64 s[8:9], -1
.LBB7_1572:
	s_mov_b64 s[10:11], 0
.LBB7_1573:
	s_and_b64 vcc, exec, s[10:11]
	s_cbranch_vccz .LBB7_1613
; %bb.1574:
	s_cmp_gt_i32 s14, 22
	s_mov_b64 s[6:7], -1
	s_cbranch_scc0 .LBB7_1606
; %bb.1575:
	s_cmp_lt_i32 s14, 24
	s_cbranch_scc1 .LBB7_1595
; %bb.1576:
	s_cmp_gt_i32 s14, 24
	s_cbranch_scc0 .LBB7_1584
; %bb.1577:
	v_cvt_f32_f64_e32 v2, v[0:1]
	s_mov_b32 s6, 0x47800000
	v_mov_b32_e32 v6, 0x80
	v_and_b32_e32 v3, 0x7fffffff, v2
	v_cmp_gt_u32_e32 vcc, s6, v3
	s_and_saveexec_b64 s[6:7], vcc
	s_cbranch_execz .LBB7_1583
; %bb.1578:
	s_mov_b32 s8, 0x37ffffff
	v_cmp_lt_u32_e32 vcc, s8, v3
	s_mov_b64 s[8:9], 0
                                        ; implicit-def: $vgpr3
	s_and_saveexec_b64 s[10:11], vcc
	s_xor_b64 s[10:11], exec, s[10:11]
	s_cbranch_execz .LBB7_2022
; %bb.1579:
	v_bfe_u32 v3, v2, 21, 1
	s_mov_b32 s12, 0x88fffff
	v_add3_u32 v3, v2, v3, s12
	s_mov_b64 s[8:9], exec
	v_lshrrev_b32_e32 v3, 21, v3
	s_andn2_saveexec_b64 s[10:11], s[10:11]
	s_cbranch_execnz .LBB7_2023
.LBB7_1580:
	s_or_b64 exec, exec, s[10:11]
	v_mov_b32_e32 v6, 0
	s_and_saveexec_b64 s[10:11], s[8:9]
.LBB7_1581:
	v_lshrrev_b32_e32 v2, 24, v2
	s_movk_i32 s8, 0x80
	v_and_or_b32 v6, v2, s8, v3
.LBB7_1582:
	s_or_b64 exec, exec, s[10:11]
.LBB7_1583:
	s_or_b64 exec, exec, s[6:7]
	s_mov_b64 s[6:7], 0
	global_store_byte v[4:5], v6, off
.LBB7_1584:
	s_and_b64 vcc, exec, s[6:7]
	s_cbranch_vccz .LBB7_1594
; %bb.1585:
	v_cvt_f32_f64_e32 v2, v[0:1]
	s_mov_b32 s6, 0x43f00000
                                        ; implicit-def: $vgpr3
	v_and_b32_e32 v6, 0x7fffffff, v2
	v_cmp_gt_u32_e32 vcc, s6, v6
	s_and_saveexec_b64 s[6:7], vcc
	s_xor_b64 s[6:7], exec, s[6:7]
	s_cbranch_execz .LBB7_1591
; %bb.1586:
	s_mov_b32 s8, 0x3c7fffff
	v_cmp_lt_u32_e32 vcc, s8, v6
                                        ; implicit-def: $vgpr3
	s_and_saveexec_b64 s[8:9], vcc
	s_xor_b64 s[8:9], exec, s[8:9]
; %bb.1587:
	v_bfe_u32 v3, v2, 20, 1
	s_mov_b32 s10, 0x407ffff
	v_add3_u32 v3, v2, v3, s10
	v_lshrrev_b32_e32 v6, 20, v3
	v_and_b32_e32 v3, 0xff00000, v3
	s_mov_b32 s10, 0x7f00000
	v_mov_b32_e32 v7, 0x7e
	v_cmp_ne_u32_e32 vcc, s10, v3
	v_cndmask_b32_e32 v3, v7, v6, vcc
; %bb.1588:
	s_andn2_saveexec_b64 s[8:9], s[8:9]
; %bb.1589:
	s_mov_b32 s10, 0x46800000
	v_add_f32_e64 v3, |v2|, s10
; %bb.1590:
	s_or_b64 exec, exec, s[8:9]
                                        ; implicit-def: $vgpr6
.LBB7_1591:
	s_andn2_saveexec_b64 s[6:7], s[6:7]
; %bb.1592:
	s_mov_b32 s8, 0x7f800000
	v_mov_b32_e32 v3, 0x7e
	v_mov_b32_e32 v7, 0x7f
	v_cmp_lt_u32_e32 vcc, s8, v6
	v_cndmask_b32_e32 v3, v3, v7, vcc
; %bb.1593:
	s_or_b64 exec, exec, s[6:7]
	v_lshrrev_b32_e32 v2, 24, v2
	s_movk_i32 s6, 0x80
	v_and_or_b32 v2, v2, s6, v3
	global_store_byte v[4:5], v2, off
.LBB7_1594:
	s_mov_b64 s[6:7], 0
.LBB7_1595:
	s_andn2_b64 vcc, exec, s[6:7]
	s_cbranch_vccnz .LBB7_1605
; %bb.1596:
	v_cvt_f32_f64_e32 v2, v[0:1]
	s_mov_b32 s6, 0x47800000
                                        ; implicit-def: $vgpr3
	v_and_b32_e32 v6, 0x7fffffff, v2
	v_cmp_gt_u32_e32 vcc, s6, v6
	s_and_saveexec_b64 s[6:7], vcc
	s_xor_b64 s[6:7], exec, s[6:7]
	s_cbranch_execz .LBB7_1602
; %bb.1597:
	s_mov_b32 s8, 0x387fffff
	v_cmp_lt_u32_e32 vcc, s8, v6
                                        ; implicit-def: $vgpr3
	s_and_saveexec_b64 s[8:9], vcc
	s_xor_b64 s[8:9], exec, s[8:9]
; %bb.1598:
	v_bfe_u32 v3, v2, 21, 1
	s_mov_b32 s10, 0x80fffff
	v_add3_u32 v3, v2, v3, s10
	v_lshrrev_b32_e32 v3, 21, v3
; %bb.1599:
	s_andn2_saveexec_b64 s[8:9], s[8:9]
; %bb.1600:
	s_mov_b32 s10, 0x43000000
	v_add_f32_e64 v3, |v2|, s10
; %bb.1601:
	s_or_b64 exec, exec, s[8:9]
                                        ; implicit-def: $vgpr6
.LBB7_1602:
	s_andn2_saveexec_b64 s[6:7], s[6:7]
; %bb.1603:
	s_mov_b32 s8, 0x7f800000
	v_mov_b32_e32 v3, 0x7c
	v_mov_b32_e32 v7, 0x7f
	v_cmp_lt_u32_e32 vcc, s8, v6
	v_cndmask_b32_e32 v3, v3, v7, vcc
; %bb.1604:
	s_or_b64 exec, exec, s[6:7]
	v_lshrrev_b32_e32 v2, 24, v2
	s_movk_i32 s6, 0x80
	v_and_or_b32 v2, v2, s6, v3
	global_store_byte v[4:5], v2, off
.LBB7_1605:
	s_mov_b64 s[6:7], 0
	s_mov_b64 s[8:9], -1
.LBB7_1606:
	s_andn2_b64 vcc, exec, s[6:7]
	s_mov_b64 s[6:7], 0
	s_cbranch_vccnz .LBB7_1613
; %bb.1607:
	s_cmp_gt_i32 s14, 14
	s_mov_b64 s[10:11], -1
	s_cbranch_scc0 .LBB7_1611
; %bb.1608:
	s_cmp_eq_u32 s14, 15
	s_mov_b64 s[4:5], -1
	s_cbranch_scc0 .LBB7_1610
; %bb.1609:
	v_cvt_f32_f64_e32 v2, v[0:1]
	s_movk_i32 s4, 0x7fff
	v_mov_b32_e32 v3, 0x7fc0
	s_mov_b64 s[8:9], -1
	v_bfe_u32 v6, v2, 16, 1
	v_cmp_o_f32_e32 vcc, v2, v2
	v_add3_u32 v2, v2, v6, s4
	v_cndmask_b32_sdwa v2, v3, v2, vcc dst_sel:DWORD dst_unused:UNUSED_PAD src0_sel:DWORD src1_sel:WORD_1
	global_store_short v[4:5], v2, off
	s_mov_b64 s[4:5], 0
.LBB7_1610:
	s_mov_b64 s[10:11], 0
.LBB7_1611:
	s_and_b64 vcc, exec, s[10:11]
	s_cbranch_vccz .LBB7_1613
; %bb.1612:
	s_cmp_lg_u32 s14, 11
	s_mov_b64 s[6:7], -1
	s_cselect_b64 s[4:5], -1, 0
.LBB7_1613:
	s_and_b64 vcc, exec, s[4:5]
	s_cbranch_vccnz .LBB7_2021
; %bb.1614:
	s_andn2_b64 vcc, exec, s[6:7]
	s_cbranch_vccnz .LBB7_1616
.LBB7_1615:
	v_cmp_neq_f64_e32 vcc, 0, v[0:1]
	s_mov_b64 s[8:9], -1
	v_cndmask_b32_e64 v2, 0, 1, vcc
	global_store_byte v[4:5], v2, off
.LBB7_1616:
	s_mov_b64 s[4:5], 0
	s_branch .LBB7_1618
.LBB7_1617:
	s_mov_b64 s[4:5], -1
	s_mov_b64 s[8:9], 0
.LBB7_1618:
	s_and_b64 vcc, exec, s[4:5]
	s_cbranch_vccz .LBB7_1657
; %bb.1619:
	s_and_b32 s6, 0xffff, s52
	s_cmp_lt_i32 s6, 5
	s_mov_b64 s[4:5], -1
	s_cbranch_scc1 .LBB7_1640
; %bb.1620:
	s_cmp_lt_i32 s6, 8
	s_cbranch_scc1 .LBB7_1630
; %bb.1621:
	s_cmp_lt_i32 s6, 9
	s_cbranch_scc1 .LBB7_1627
; %bb.1622:
	s_cmp_gt_i32 s6, 9
	s_cbranch_scc0 .LBB7_1624
; %bb.1623:
	v_mov_b32_e32 v2, 0
	v_mov_b32_e32 v3, v2
	global_store_dwordx4 v[4:5], v[0:3], off
	s_mov_b64 s[4:5], 0
.LBB7_1624:
	s_andn2_b64 vcc, exec, s[4:5]
	s_cbranch_vccnz .LBB7_1626
; %bb.1625:
	v_cvt_f32_f64_e32 v2, v[0:1]
	v_mov_b32_e32 v3, 0
	global_store_dwordx2 v[4:5], v[2:3], off
.LBB7_1626:
	s_mov_b64 s[4:5], 0
.LBB7_1627:
	s_andn2_b64 vcc, exec, s[4:5]
	s_cbranch_vccnz .LBB7_1629
; %bb.1628:
	s_movk_i32 s4, 0x1ff
	v_and_or_b32 v2, v1, s4, v0
	v_cmp_ne_u32_e32 vcc, 0, v2
	v_cndmask_b32_e64 v2, 0, 1, vcc
	v_lshrrev_b32_e32 v3, 8, v1
	s_movk_i32 s4, 0xffe
	v_bfe_u32 v6, v1, 20, 11
	v_and_or_b32 v2, v3, s4, v2
	v_sub_u32_e32 v7, 0x3f1, v6
	v_or_b32_e32 v3, 0x1000, v2
	v_med3_i32 v7, v7, 0, 13
	v_lshrrev_b32_e32 v8, v7, v3
	v_lshlrev_b32_e32 v7, v7, v8
	v_cmp_ne_u32_e32 vcc, v7, v3
	v_cndmask_b32_e64 v3, 0, 1, vcc
	v_add_u32_e32 v6, 0xfffffc10, v6
	v_or_b32_e32 v3, v8, v3
	v_lshl_or_b32 v7, v6, 12, v2
	v_cmp_gt_i32_e32 vcc, 1, v6
	v_cndmask_b32_e32 v3, v7, v3, vcc
	v_and_b32_e32 v7, 7, v3
	v_cmp_lt_i32_e32 vcc, 5, v7
	v_cndmask_b32_e64 v8, 0, 1, vcc
	v_cmp_eq_u32_e32 vcc, 3, v7
	v_cndmask_b32_e64 v7, 0, 1, vcc
	v_or_b32_e32 v7, v7, v8
	v_lshrrev_b32_e32 v3, 2, v3
	v_add_u32_e32 v3, v3, v7
	v_mov_b32_e32 v7, 0x7c00
	v_cmp_gt_i32_e32 vcc, 31, v6
	v_cndmask_b32_e32 v3, v7, v3, vcc
	v_mov_b32_e32 v8, 0x7e00
	v_cmp_ne_u32_e32 vcc, 0, v2
	s_movk_i32 s4, 0x40f
	v_cndmask_b32_e32 v2, v7, v8, vcc
	v_cmp_eq_u32_e32 vcc, s4, v6
	v_cndmask_b32_e32 v2, v3, v2, vcc
	v_lshrrev_b32_e32 v3, 16, v1
	s_mov_b32 s4, 0x8000
	v_and_or_b32 v2, v3, s4, v2
	v_and_b32_e32 v2, 0xffff, v2
	global_store_dword v[4:5], v2, off
.LBB7_1629:
	s_mov_b64 s[4:5], 0
.LBB7_1630:
	s_andn2_b64 vcc, exec, s[4:5]
	s_cbranch_vccnz .LBB7_1639
; %bb.1631:
	s_cmp_lt_i32 s6, 6
	s_mov_b64 s[4:5], -1
	s_cbranch_scc1 .LBB7_1637
; %bb.1632:
	s_cmp_gt_i32 s6, 6
	s_cbranch_scc0 .LBB7_1634
; %bb.1633:
	global_store_dwordx2 v[4:5], v[0:1], off
	s_mov_b64 s[4:5], 0
.LBB7_1634:
	s_andn2_b64 vcc, exec, s[4:5]
	s_cbranch_vccnz .LBB7_1636
; %bb.1635:
	v_cvt_f32_f64_e32 v2, v[0:1]
	global_store_dword v[4:5], v2, off
.LBB7_1636:
	s_mov_b64 s[4:5], 0
.LBB7_1637:
	s_andn2_b64 vcc, exec, s[4:5]
	s_cbranch_vccnz .LBB7_1639
; %bb.1638:
	s_movk_i32 s4, 0x1ff
	v_and_or_b32 v2, v1, s4, v0
	v_cmp_ne_u32_e32 vcc, 0, v2
	v_cndmask_b32_e64 v2, 0, 1, vcc
	v_lshrrev_b32_e32 v3, 8, v1
	s_movk_i32 s4, 0xffe
	v_bfe_u32 v6, v1, 20, 11
	v_and_or_b32 v2, v3, s4, v2
	v_sub_u32_e32 v7, 0x3f1, v6
	v_or_b32_e32 v3, 0x1000, v2
	v_med3_i32 v7, v7, 0, 13
	v_lshrrev_b32_e32 v8, v7, v3
	v_lshlrev_b32_e32 v7, v7, v8
	v_cmp_ne_u32_e32 vcc, v7, v3
	v_cndmask_b32_e64 v3, 0, 1, vcc
	v_add_u32_e32 v6, 0xfffffc10, v6
	v_or_b32_e32 v3, v8, v3
	v_lshl_or_b32 v7, v6, 12, v2
	v_cmp_gt_i32_e32 vcc, 1, v6
	v_cndmask_b32_e32 v3, v7, v3, vcc
	v_and_b32_e32 v7, 7, v3
	v_cmp_lt_i32_e32 vcc, 5, v7
	v_cndmask_b32_e64 v8, 0, 1, vcc
	v_cmp_eq_u32_e32 vcc, 3, v7
	v_cndmask_b32_e64 v7, 0, 1, vcc
	v_or_b32_e32 v7, v7, v8
	v_lshrrev_b32_e32 v3, 2, v3
	v_add_u32_e32 v3, v3, v7
	v_mov_b32_e32 v7, 0x7c00
	v_cmp_gt_i32_e32 vcc, 31, v6
	v_cndmask_b32_e32 v3, v7, v3, vcc
	v_mov_b32_e32 v8, 0x7e00
	v_cmp_ne_u32_e32 vcc, 0, v2
	s_movk_i32 s4, 0x40f
	v_cndmask_b32_e32 v2, v7, v8, vcc
	v_cmp_eq_u32_e32 vcc, s4, v6
	v_cndmask_b32_e32 v2, v3, v2, vcc
	v_lshrrev_b32_e32 v3, 16, v1
	s_mov_b32 s4, 0x8000
	v_and_or_b32 v2, v3, s4, v2
	global_store_short v[4:5], v2, off
.LBB7_1639:
	s_mov_b64 s[4:5], 0
.LBB7_1640:
	s_andn2_b64 vcc, exec, s[4:5]
	s_cbranch_vccnz .LBB7_1656
; %bb.1641:
	s_cmp_lt_i32 s6, 2
	s_mov_b64 s[4:5], -1
	s_cbranch_scc1 .LBB7_1651
; %bb.1642:
	s_cmp_lt_i32 s6, 3
	s_cbranch_scc1 .LBB7_1648
; %bb.1643:
	s_cmp_gt_i32 s6, 3
	s_cbranch_scc0 .LBB7_1645
; %bb.1644:
	v_trunc_f64_e32 v[2:3], v[0:1]
	s_movk_i32 s4, 0xffe0
	v_ldexp_f64 v[6:7], v[2:3], s4
	s_mov_b32 s4, 0
	s_mov_b32 s5, 0xc1f00000
	v_floor_f64_e32 v[6:7], v[6:7]
	v_fma_f64 v[2:3], v[6:7], s[4:5], v[2:3]
	v_cvt_i32_f64_e32 v7, v[6:7]
	s_mov_b64 s[4:5], 0
	v_cvt_u32_f64_e32 v6, v[2:3]
	global_store_dwordx2 v[4:5], v[6:7], off
.LBB7_1645:
	s_andn2_b64 vcc, exec, s[4:5]
	s_cbranch_vccnz .LBB7_1647
; %bb.1646:
	v_cvt_i32_f64_e32 v2, v[0:1]
	global_store_dword v[4:5], v2, off
.LBB7_1647:
	s_mov_b64 s[4:5], 0
.LBB7_1648:
	s_andn2_b64 vcc, exec, s[4:5]
	s_cbranch_vccnz .LBB7_1650
; %bb.1649:
	v_cvt_i32_f64_e32 v2, v[0:1]
	global_store_short v[4:5], v2, off
.LBB7_1650:
	s_mov_b64 s[4:5], 0
.LBB7_1651:
	s_andn2_b64 vcc, exec, s[4:5]
	s_cbranch_vccnz .LBB7_1656
; %bb.1652:
	s_cmp_gt_i32 s6, 0
	s_mov_b64 s[4:5], -1
	s_cbranch_scc0 .LBB7_1654
; %bb.1653:
	v_cvt_i32_f64_e32 v2, v[0:1]
	s_mov_b64 s[4:5], 0
	global_store_byte v[4:5], v2, off
.LBB7_1654:
	s_andn2_b64 vcc, exec, s[4:5]
	s_cbranch_vccnz .LBB7_1656
; %bb.1655:
	v_trunc_f64_e32 v[0:1], v[0:1]
	s_movk_i32 s4, 0xffe0
	v_ldexp_f64 v[2:3], v[0:1], s4
	s_mov_b32 s4, 0
	s_mov_b32 s5, 0xc1f00000
	v_floor_f64_e32 v[2:3], v[2:3]
	v_fma_f64 v[0:1], v[2:3], s[4:5], v[0:1]
	v_cvt_u32_f64_e32 v0, v[0:1]
	global_store_byte v[4:5], v0, off
.LBB7_1656:
	s_mov_b64 s[8:9], -1
.LBB7_1657:
	s_andn2_b64 vcc, exec, s[8:9]
	s_cbranch_vccnz .LBB7_1972
; %bb.1658:
	s_getpc_b64 s[4:5]
	s_add_u32 s4, s4, _ZZZZN2at6native12_GLOBAL__N_121bessel_j1_kernel_cudaERNS_18TensorIteratorBaseEENKUlvE_clEvENKUlvE_clEvENKUldE_clEd@rel32@lo+4
	s_addc_u32 s5, s5, _ZZZZN2at6native12_GLOBAL__N_121bessel_j1_kernel_cudaERNS_18TensorIteratorBaseEENKUlvE_clEvENKUlvE_clEvENKUldE_clEd@rel32@hi+12
	v_mov_b32_e32 v0, v42
	v_mov_b32_e32 v1, v43
	s_swappc_b64 s[30:31], s[4:5]
	s_lshl_b32 s33, s34, 7
	v_add_u32_e32 v42, s33, v44
	v_ashrrev_i32_e32 v2, 31, v42
	v_mov_b32_e32 v3, s37
	v_add_co_u32_e32 v4, vcc, s36, v42
	s_cmp_lt_i32 s52, 11
	v_addc_co_u32_e32 v5, vcc, v3, v2, vcc
	s_cbranch_scc1 .LBB7_1736
; %bb.1659:
	s_and_b32 s14, 0xffff, s52
	s_mov_b64 s[10:11], -1
	s_mov_b64 s[6:7], 0
	s_cmp_gt_i32 s14, 25
	s_mov_b64 s[8:9], 0
	s_mov_b64 s[4:5], 0
	s_cbranch_scc0 .LBB7_1692
; %bb.1660:
	s_cmp_gt_i32 s14, 28
	s_cbranch_scc0 .LBB7_1675
; %bb.1661:
	s_cmp_gt_i32 s14, 43
	;; [unrolled: 3-line block ×3, first 2 shown]
	s_cbranch_scc0 .LBB7_1665
; %bb.1663:
	s_mov_b64 s[4:5], -1
	s_mov_b64 s[10:11], 0
	s_cmp_eq_u32 s14, 46
	s_cbranch_scc0 .LBB7_1665
; %bb.1664:
	v_cvt_f32_f64_e32 v2, v[0:1]
	s_movk_i32 s4, 0x7fff
	v_mov_b32_e32 v3, 0x7fc0
	s_mov_b64 s[8:9], -1
	v_bfe_u32 v6, v2, 16, 1
	v_cmp_o_f32_e32 vcc, v2, v2
	v_add3_u32 v2, v2, v6, s4
	v_cndmask_b32_sdwa v2, v3, v2, vcc dst_sel:DWORD dst_unused:UNUSED_PAD src0_sel:DWORD src1_sel:WORD_1
	global_store_dword v[4:5], v2, off
	s_mov_b64 s[4:5], 0
.LBB7_1665:
	s_and_b64 vcc, exec, s[10:11]
	s_cbranch_vccz .LBB7_1670
; %bb.1666:
	s_cmp_eq_u32 s14, 44
	s_mov_b64 s[4:5], -1
	s_cbranch_scc0 .LBB7_1670
; %bb.1667:
	v_cvt_f32_f64_e32 v2, v[0:1]
	s_movk_i32 s4, 0xff
	v_mov_b32_e32 v6, 0xff
	v_bfe_u32 v3, v2, 23, 8
	v_cmp_ne_u32_e32 vcc, s4, v3
	s_and_saveexec_b64 s[8:9], vcc
; %bb.1668:
	s_mov_b32 s4, 0x3fffff
	v_lshrrev_b32_e32 v6, 23, v2
	v_and_b32_e32 v7, 0x400000, v2
	v_and_or_b32 v2, v2, s4, v3
	v_cmp_ne_u32_e32 vcc, 0, v7
	v_cmp_ne_u32_e64 s[4:5], 0, v2
	s_and_b64 s[4:5], vcc, s[4:5]
	v_cndmask_b32_e64 v2, 0, 1, s[4:5]
	v_add_u32_e32 v6, v6, v2
; %bb.1669:
	s_or_b64 exec, exec, s[8:9]
	s_mov_b64 s[4:5], 0
	s_mov_b64 s[8:9], -1
	global_store_byte v[4:5], v6, off
.LBB7_1670:
	s_mov_b64 s[10:11], 0
.LBB7_1671:
	s_and_b64 vcc, exec, s[10:11]
	s_cbranch_vccz .LBB7_1674
; %bb.1672:
	s_cmp_eq_u32 s14, 29
	s_mov_b64 s[4:5], -1
	s_cbranch_scc0 .LBB7_1674
; %bb.1673:
	v_trunc_f64_e32 v[2:3], v[0:1]
	s_movk_i32 s4, 0xffe0
	s_mov_b64 s[8:9], -1
	v_ldexp_f64 v[6:7], v[2:3], s4
	s_mov_b32 s4, 0
	s_mov_b32 s5, 0xc1f00000
	v_floor_f64_e32 v[6:7], v[6:7]
	v_fma_f64 v[2:3], v[6:7], s[4:5], v[2:3]
	v_cvt_u32_f64_e32 v7, v[6:7]
	s_mov_b64 s[4:5], 0
	v_cvt_u32_f64_e32 v6, v[2:3]
	global_store_dwordx2 v[4:5], v[6:7], off
.LBB7_1674:
	s_mov_b64 s[10:11], 0
.LBB7_1675:
	s_and_b64 vcc, exec, s[10:11]
	s_cbranch_vccz .LBB7_1691
; %bb.1676:
	s_cmp_lt_i32 s14, 27
	s_mov_b64 s[8:9], -1
	s_cbranch_scc1 .LBB7_1682
; %bb.1677:
	v_cvt_u32_f64_e32 v2, v[0:1]
	s_cmp_gt_i32 s14, 27
	s_cbranch_scc0 .LBB7_1679
; %bb.1678:
	s_mov_b64 s[8:9], 0
	global_store_dword v[4:5], v2, off
.LBB7_1679:
	s_andn2_b64 vcc, exec, s[8:9]
	s_cbranch_vccnz .LBB7_1681
; %bb.1680:
	global_store_short v[4:5], v2, off
.LBB7_1681:
	s_mov_b64 s[8:9], 0
.LBB7_1682:
	s_andn2_b64 vcc, exec, s[8:9]
	s_cbranch_vccnz .LBB7_1690
; %bb.1683:
	v_cvt_f32_f64_e32 v2, v[0:1]
	s_mov_b32 s8, 0x43800000
	v_mov_b32_e32 v6, 0x80
	v_and_b32_e32 v3, 0x7fffffff, v2
	v_cmp_gt_u32_e32 vcc, s8, v3
	s_and_saveexec_b64 s[8:9], vcc
	s_cbranch_execz .LBB7_1689
; %bb.1684:
	s_mov_b32 s10, 0x3bffffff
	v_cmp_lt_u32_e32 vcc, s10, v3
	s_mov_b64 s[10:11], 0
                                        ; implicit-def: $vgpr3
	s_and_saveexec_b64 s[12:13], vcc
	s_xor_b64 s[12:13], exec, s[12:13]
	s_cbranch_execz .LBB7_2024
; %bb.1685:
	v_bfe_u32 v3, v2, 20, 1
	s_mov_b32 s15, 0x487ffff
	v_add3_u32 v3, v2, v3, s15
	s_mov_b64 s[10:11], exec
	v_lshrrev_b32_e32 v3, 20, v3
	s_andn2_saveexec_b64 s[12:13], s[12:13]
	s_cbranch_execnz .LBB7_2025
.LBB7_1686:
	s_or_b64 exec, exec, s[12:13]
	v_mov_b32_e32 v6, 0
	s_and_saveexec_b64 s[12:13], s[10:11]
.LBB7_1687:
	v_lshrrev_b32_e32 v2, 24, v2
	s_movk_i32 s10, 0x80
	v_and_or_b32 v6, v2, s10, v3
.LBB7_1688:
	s_or_b64 exec, exec, s[12:13]
.LBB7_1689:
	s_or_b64 exec, exec, s[8:9]
	global_store_byte v[4:5], v6, off
.LBB7_1690:
	s_mov_b64 s[8:9], -1
.LBB7_1691:
	s_mov_b64 s[10:11], 0
.LBB7_1692:
	s_and_b64 vcc, exec, s[10:11]
	s_cbranch_vccz .LBB7_1732
; %bb.1693:
	s_cmp_gt_i32 s14, 22
	s_mov_b64 s[6:7], -1
	s_cbranch_scc0 .LBB7_1725
; %bb.1694:
	s_cmp_lt_i32 s14, 24
	s_cbranch_scc1 .LBB7_1714
; %bb.1695:
	s_cmp_gt_i32 s14, 24
	s_cbranch_scc0 .LBB7_1703
; %bb.1696:
	v_cvt_f32_f64_e32 v2, v[0:1]
	s_mov_b32 s6, 0x47800000
	v_mov_b32_e32 v6, 0x80
	v_and_b32_e32 v3, 0x7fffffff, v2
	v_cmp_gt_u32_e32 vcc, s6, v3
	s_and_saveexec_b64 s[6:7], vcc
	s_cbranch_execz .LBB7_1702
; %bb.1697:
	s_mov_b32 s8, 0x37ffffff
	v_cmp_lt_u32_e32 vcc, s8, v3
	s_mov_b64 s[8:9], 0
                                        ; implicit-def: $vgpr3
	s_and_saveexec_b64 s[10:11], vcc
	s_xor_b64 s[10:11], exec, s[10:11]
	s_cbranch_execz .LBB7_2027
; %bb.1698:
	v_bfe_u32 v3, v2, 21, 1
	s_mov_b32 s12, 0x88fffff
	v_add3_u32 v3, v2, v3, s12
	s_mov_b64 s[8:9], exec
	v_lshrrev_b32_e32 v3, 21, v3
	s_andn2_saveexec_b64 s[10:11], s[10:11]
	s_cbranch_execnz .LBB7_2028
.LBB7_1699:
	s_or_b64 exec, exec, s[10:11]
	v_mov_b32_e32 v6, 0
	s_and_saveexec_b64 s[10:11], s[8:9]
.LBB7_1700:
	v_lshrrev_b32_e32 v2, 24, v2
	s_movk_i32 s8, 0x80
	v_and_or_b32 v6, v2, s8, v3
.LBB7_1701:
	s_or_b64 exec, exec, s[10:11]
.LBB7_1702:
	s_or_b64 exec, exec, s[6:7]
	s_mov_b64 s[6:7], 0
	global_store_byte v[4:5], v6, off
.LBB7_1703:
	s_and_b64 vcc, exec, s[6:7]
	s_cbranch_vccz .LBB7_1713
; %bb.1704:
	v_cvt_f32_f64_e32 v2, v[0:1]
	s_mov_b32 s6, 0x43f00000
                                        ; implicit-def: $vgpr3
	v_and_b32_e32 v6, 0x7fffffff, v2
	v_cmp_gt_u32_e32 vcc, s6, v6
	s_and_saveexec_b64 s[6:7], vcc
	s_xor_b64 s[6:7], exec, s[6:7]
	s_cbranch_execz .LBB7_1710
; %bb.1705:
	s_mov_b32 s8, 0x3c7fffff
	v_cmp_lt_u32_e32 vcc, s8, v6
                                        ; implicit-def: $vgpr3
	s_and_saveexec_b64 s[8:9], vcc
	s_xor_b64 s[8:9], exec, s[8:9]
; %bb.1706:
	v_bfe_u32 v3, v2, 20, 1
	s_mov_b32 s10, 0x407ffff
	v_add3_u32 v3, v2, v3, s10
	v_lshrrev_b32_e32 v6, 20, v3
	v_and_b32_e32 v3, 0xff00000, v3
	s_mov_b32 s10, 0x7f00000
	v_mov_b32_e32 v7, 0x7e
	v_cmp_ne_u32_e32 vcc, s10, v3
	v_cndmask_b32_e32 v3, v7, v6, vcc
; %bb.1707:
	s_andn2_saveexec_b64 s[8:9], s[8:9]
; %bb.1708:
	s_mov_b32 s10, 0x46800000
	v_add_f32_e64 v3, |v2|, s10
; %bb.1709:
	s_or_b64 exec, exec, s[8:9]
                                        ; implicit-def: $vgpr6
.LBB7_1710:
	s_andn2_saveexec_b64 s[6:7], s[6:7]
; %bb.1711:
	s_mov_b32 s8, 0x7f800000
	v_mov_b32_e32 v3, 0x7e
	v_mov_b32_e32 v7, 0x7f
	v_cmp_lt_u32_e32 vcc, s8, v6
	v_cndmask_b32_e32 v3, v3, v7, vcc
; %bb.1712:
	s_or_b64 exec, exec, s[6:7]
	v_lshrrev_b32_e32 v2, 24, v2
	s_movk_i32 s6, 0x80
	v_and_or_b32 v2, v2, s6, v3
	global_store_byte v[4:5], v2, off
.LBB7_1713:
	s_mov_b64 s[6:7], 0
.LBB7_1714:
	s_andn2_b64 vcc, exec, s[6:7]
	s_cbranch_vccnz .LBB7_1724
; %bb.1715:
	v_cvt_f32_f64_e32 v2, v[0:1]
	s_mov_b32 s6, 0x47800000
                                        ; implicit-def: $vgpr3
	v_and_b32_e32 v6, 0x7fffffff, v2
	v_cmp_gt_u32_e32 vcc, s6, v6
	s_and_saveexec_b64 s[6:7], vcc
	s_xor_b64 s[6:7], exec, s[6:7]
	s_cbranch_execz .LBB7_1721
; %bb.1716:
	s_mov_b32 s8, 0x387fffff
	v_cmp_lt_u32_e32 vcc, s8, v6
                                        ; implicit-def: $vgpr3
	s_and_saveexec_b64 s[8:9], vcc
	s_xor_b64 s[8:9], exec, s[8:9]
; %bb.1717:
	v_bfe_u32 v3, v2, 21, 1
	s_mov_b32 s10, 0x80fffff
	v_add3_u32 v3, v2, v3, s10
	v_lshrrev_b32_e32 v3, 21, v3
; %bb.1718:
	s_andn2_saveexec_b64 s[8:9], s[8:9]
; %bb.1719:
	s_mov_b32 s10, 0x43000000
	v_add_f32_e64 v3, |v2|, s10
; %bb.1720:
	s_or_b64 exec, exec, s[8:9]
                                        ; implicit-def: $vgpr6
.LBB7_1721:
	s_andn2_saveexec_b64 s[6:7], s[6:7]
; %bb.1722:
	s_mov_b32 s8, 0x7f800000
	v_mov_b32_e32 v3, 0x7c
	v_mov_b32_e32 v7, 0x7f
	v_cmp_lt_u32_e32 vcc, s8, v6
	v_cndmask_b32_e32 v3, v3, v7, vcc
; %bb.1723:
	s_or_b64 exec, exec, s[6:7]
	v_lshrrev_b32_e32 v2, 24, v2
	s_movk_i32 s6, 0x80
	v_and_or_b32 v2, v2, s6, v3
	global_store_byte v[4:5], v2, off
.LBB7_1724:
	s_mov_b64 s[6:7], 0
	s_mov_b64 s[8:9], -1
.LBB7_1725:
	s_andn2_b64 vcc, exec, s[6:7]
	s_mov_b64 s[6:7], 0
	s_cbranch_vccnz .LBB7_1732
; %bb.1726:
	s_cmp_gt_i32 s14, 14
	s_mov_b64 s[10:11], -1
	s_cbranch_scc0 .LBB7_1730
; %bb.1727:
	s_cmp_eq_u32 s14, 15
	s_mov_b64 s[4:5], -1
	s_cbranch_scc0 .LBB7_1729
; %bb.1728:
	v_cvt_f32_f64_e32 v2, v[0:1]
	s_movk_i32 s4, 0x7fff
	v_mov_b32_e32 v3, 0x7fc0
	s_mov_b64 s[8:9], -1
	v_bfe_u32 v6, v2, 16, 1
	v_cmp_o_f32_e32 vcc, v2, v2
	v_add3_u32 v2, v2, v6, s4
	v_cndmask_b32_sdwa v2, v3, v2, vcc dst_sel:DWORD dst_unused:UNUSED_PAD src0_sel:DWORD src1_sel:WORD_1
	global_store_short v[4:5], v2, off
	s_mov_b64 s[4:5], 0
.LBB7_1729:
	s_mov_b64 s[10:11], 0
.LBB7_1730:
	s_and_b64 vcc, exec, s[10:11]
	s_cbranch_vccz .LBB7_1732
; %bb.1731:
	s_cmp_lg_u32 s14, 11
	s_mov_b64 s[6:7], -1
	s_cselect_b64 s[4:5], -1, 0
.LBB7_1732:
	s_and_b64 vcc, exec, s[4:5]
	s_cbranch_vccnz .LBB7_2026
; %bb.1733:
	s_andn2_b64 vcc, exec, s[6:7]
	s_cbranch_vccnz .LBB7_1735
.LBB7_1734:
	v_cmp_neq_f64_e32 vcc, 0, v[0:1]
	s_mov_b64 s[8:9], -1
	v_cndmask_b32_e64 v2, 0, 1, vcc
	global_store_byte v[4:5], v2, off
.LBB7_1735:
	s_mov_b64 s[4:5], 0
	s_branch .LBB7_1737
.LBB7_1736:
	s_mov_b64 s[4:5], -1
	s_mov_b64 s[8:9], 0
.LBB7_1737:
	s_and_b64 vcc, exec, s[4:5]
	s_cbranch_vccz .LBB7_1776
; %bb.1738:
	s_and_b32 s6, 0xffff, s52
	s_cmp_lt_i32 s6, 5
	s_mov_b64 s[4:5], -1
	s_cbranch_scc1 .LBB7_1759
; %bb.1739:
	s_cmp_lt_i32 s6, 8
	s_cbranch_scc1 .LBB7_1749
; %bb.1740:
	s_cmp_lt_i32 s6, 9
	s_cbranch_scc1 .LBB7_1746
; %bb.1741:
	s_cmp_gt_i32 s6, 9
	s_cbranch_scc0 .LBB7_1743
; %bb.1742:
	v_mov_b32_e32 v2, 0
	v_mov_b32_e32 v3, v2
	global_store_dwordx4 v[4:5], v[0:3], off
	s_mov_b64 s[4:5], 0
.LBB7_1743:
	s_andn2_b64 vcc, exec, s[4:5]
	s_cbranch_vccnz .LBB7_1745
; %bb.1744:
	v_cvt_f32_f64_e32 v2, v[0:1]
	v_mov_b32_e32 v3, 0
	global_store_dwordx2 v[4:5], v[2:3], off
.LBB7_1745:
	s_mov_b64 s[4:5], 0
.LBB7_1746:
	s_andn2_b64 vcc, exec, s[4:5]
	s_cbranch_vccnz .LBB7_1748
; %bb.1747:
	s_movk_i32 s4, 0x1ff
	v_and_or_b32 v2, v1, s4, v0
	v_cmp_ne_u32_e32 vcc, 0, v2
	v_cndmask_b32_e64 v2, 0, 1, vcc
	v_lshrrev_b32_e32 v3, 8, v1
	s_movk_i32 s4, 0xffe
	v_bfe_u32 v6, v1, 20, 11
	v_and_or_b32 v2, v3, s4, v2
	v_sub_u32_e32 v7, 0x3f1, v6
	v_or_b32_e32 v3, 0x1000, v2
	v_med3_i32 v7, v7, 0, 13
	v_lshrrev_b32_e32 v8, v7, v3
	v_lshlrev_b32_e32 v7, v7, v8
	v_cmp_ne_u32_e32 vcc, v7, v3
	v_cndmask_b32_e64 v3, 0, 1, vcc
	v_add_u32_e32 v6, 0xfffffc10, v6
	v_or_b32_e32 v3, v8, v3
	v_lshl_or_b32 v7, v6, 12, v2
	v_cmp_gt_i32_e32 vcc, 1, v6
	v_cndmask_b32_e32 v3, v7, v3, vcc
	v_and_b32_e32 v7, 7, v3
	v_cmp_lt_i32_e32 vcc, 5, v7
	v_cndmask_b32_e64 v8, 0, 1, vcc
	v_cmp_eq_u32_e32 vcc, 3, v7
	v_cndmask_b32_e64 v7, 0, 1, vcc
	v_or_b32_e32 v7, v7, v8
	v_lshrrev_b32_e32 v3, 2, v3
	v_add_u32_e32 v3, v3, v7
	v_mov_b32_e32 v7, 0x7c00
	v_cmp_gt_i32_e32 vcc, 31, v6
	v_cndmask_b32_e32 v3, v7, v3, vcc
	v_mov_b32_e32 v8, 0x7e00
	v_cmp_ne_u32_e32 vcc, 0, v2
	s_movk_i32 s4, 0x40f
	v_cndmask_b32_e32 v2, v7, v8, vcc
	v_cmp_eq_u32_e32 vcc, s4, v6
	v_cndmask_b32_e32 v2, v3, v2, vcc
	v_lshrrev_b32_e32 v3, 16, v1
	s_mov_b32 s4, 0x8000
	v_and_or_b32 v2, v3, s4, v2
	v_and_b32_e32 v2, 0xffff, v2
	global_store_dword v[4:5], v2, off
.LBB7_1748:
	s_mov_b64 s[4:5], 0
.LBB7_1749:
	s_andn2_b64 vcc, exec, s[4:5]
	s_cbranch_vccnz .LBB7_1758
; %bb.1750:
	s_cmp_lt_i32 s6, 6
	s_mov_b64 s[4:5], -1
	s_cbranch_scc1 .LBB7_1756
; %bb.1751:
	s_cmp_gt_i32 s6, 6
	s_cbranch_scc0 .LBB7_1753
; %bb.1752:
	global_store_dwordx2 v[4:5], v[0:1], off
	s_mov_b64 s[4:5], 0
.LBB7_1753:
	s_andn2_b64 vcc, exec, s[4:5]
	s_cbranch_vccnz .LBB7_1755
; %bb.1754:
	v_cvt_f32_f64_e32 v2, v[0:1]
	global_store_dword v[4:5], v2, off
.LBB7_1755:
	s_mov_b64 s[4:5], 0
.LBB7_1756:
	s_andn2_b64 vcc, exec, s[4:5]
	s_cbranch_vccnz .LBB7_1758
; %bb.1757:
	s_movk_i32 s4, 0x1ff
	v_and_or_b32 v2, v1, s4, v0
	v_cmp_ne_u32_e32 vcc, 0, v2
	v_cndmask_b32_e64 v2, 0, 1, vcc
	v_lshrrev_b32_e32 v3, 8, v1
	s_movk_i32 s4, 0xffe
	v_bfe_u32 v6, v1, 20, 11
	v_and_or_b32 v2, v3, s4, v2
	v_sub_u32_e32 v7, 0x3f1, v6
	v_or_b32_e32 v3, 0x1000, v2
	v_med3_i32 v7, v7, 0, 13
	v_lshrrev_b32_e32 v8, v7, v3
	v_lshlrev_b32_e32 v7, v7, v8
	v_cmp_ne_u32_e32 vcc, v7, v3
	v_cndmask_b32_e64 v3, 0, 1, vcc
	v_add_u32_e32 v6, 0xfffffc10, v6
	v_or_b32_e32 v3, v8, v3
	v_lshl_or_b32 v7, v6, 12, v2
	v_cmp_gt_i32_e32 vcc, 1, v6
	v_cndmask_b32_e32 v3, v7, v3, vcc
	v_and_b32_e32 v7, 7, v3
	v_cmp_lt_i32_e32 vcc, 5, v7
	v_cndmask_b32_e64 v8, 0, 1, vcc
	v_cmp_eq_u32_e32 vcc, 3, v7
	v_cndmask_b32_e64 v7, 0, 1, vcc
	v_or_b32_e32 v7, v7, v8
	v_lshrrev_b32_e32 v3, 2, v3
	v_add_u32_e32 v3, v3, v7
	v_mov_b32_e32 v7, 0x7c00
	v_cmp_gt_i32_e32 vcc, 31, v6
	v_cndmask_b32_e32 v3, v7, v3, vcc
	v_mov_b32_e32 v8, 0x7e00
	v_cmp_ne_u32_e32 vcc, 0, v2
	s_movk_i32 s4, 0x40f
	v_cndmask_b32_e32 v2, v7, v8, vcc
	v_cmp_eq_u32_e32 vcc, s4, v6
	v_cndmask_b32_e32 v2, v3, v2, vcc
	v_lshrrev_b32_e32 v3, 16, v1
	s_mov_b32 s4, 0x8000
	v_and_or_b32 v2, v3, s4, v2
	global_store_short v[4:5], v2, off
.LBB7_1758:
	s_mov_b64 s[4:5], 0
.LBB7_1759:
	s_andn2_b64 vcc, exec, s[4:5]
	s_cbranch_vccnz .LBB7_1775
; %bb.1760:
	s_cmp_lt_i32 s6, 2
	s_mov_b64 s[4:5], -1
	s_cbranch_scc1 .LBB7_1770
; %bb.1761:
	s_cmp_lt_i32 s6, 3
	s_cbranch_scc1 .LBB7_1767
; %bb.1762:
	s_cmp_gt_i32 s6, 3
	s_cbranch_scc0 .LBB7_1764
; %bb.1763:
	v_trunc_f64_e32 v[2:3], v[0:1]
	s_movk_i32 s4, 0xffe0
	v_ldexp_f64 v[6:7], v[2:3], s4
	s_mov_b32 s4, 0
	s_mov_b32 s5, 0xc1f00000
	v_floor_f64_e32 v[6:7], v[6:7]
	v_fma_f64 v[2:3], v[6:7], s[4:5], v[2:3]
	v_cvt_i32_f64_e32 v7, v[6:7]
	s_mov_b64 s[4:5], 0
	v_cvt_u32_f64_e32 v6, v[2:3]
	global_store_dwordx2 v[4:5], v[6:7], off
.LBB7_1764:
	s_andn2_b64 vcc, exec, s[4:5]
	s_cbranch_vccnz .LBB7_1766
; %bb.1765:
	v_cvt_i32_f64_e32 v2, v[0:1]
	global_store_dword v[4:5], v2, off
.LBB7_1766:
	s_mov_b64 s[4:5], 0
.LBB7_1767:
	s_andn2_b64 vcc, exec, s[4:5]
	s_cbranch_vccnz .LBB7_1769
; %bb.1768:
	v_cvt_i32_f64_e32 v2, v[0:1]
	global_store_short v[4:5], v2, off
.LBB7_1769:
	s_mov_b64 s[4:5], 0
.LBB7_1770:
	s_andn2_b64 vcc, exec, s[4:5]
	s_cbranch_vccnz .LBB7_1775
; %bb.1771:
	s_cmp_gt_i32 s6, 0
	s_mov_b64 s[4:5], -1
	s_cbranch_scc0 .LBB7_1773
; %bb.1772:
	v_cvt_i32_f64_e32 v2, v[0:1]
	s_mov_b64 s[4:5], 0
	global_store_byte v[4:5], v2, off
.LBB7_1773:
	s_andn2_b64 vcc, exec, s[4:5]
	s_cbranch_vccnz .LBB7_1775
; %bb.1774:
	v_trunc_f64_e32 v[0:1], v[0:1]
	s_movk_i32 s4, 0xffe0
	v_ldexp_f64 v[2:3], v[0:1], s4
	s_mov_b32 s4, 0
	s_mov_b32 s5, 0xc1f00000
	v_floor_f64_e32 v[2:3], v[2:3]
	v_fma_f64 v[0:1], v[2:3], s[4:5], v[0:1]
	v_cvt_u32_f64_e32 v0, v[0:1]
	global_store_byte v[4:5], v0, off
.LBB7_1775:
	s_mov_b64 s[8:9], -1
.LBB7_1776:
	s_andn2_b64 vcc, exec, s[8:9]
	s_cbranch_vccnz .LBB7_1972
; %bb.1777:
	s_getpc_b64 s[4:5]
	s_add_u32 s4, s4, _ZZZZN2at6native12_GLOBAL__N_121bessel_j1_kernel_cudaERNS_18TensorIteratorBaseEENKUlvE_clEvENKUlvE_clEvENKUldE_clEd@rel32@lo+4
	s_addc_u32 s5, s5, _ZZZZN2at6native12_GLOBAL__N_121bessel_j1_kernel_cudaERNS_18TensorIteratorBaseEENKUlvE_clEvENKUlvE_clEvENKUldE_clEd@rel32@hi+12
	v_mov_b32_e32 v0, v40
	v_mov_b32_e32 v1, v41
	s_swappc_b64 s[30:31], s[4:5]
	v_add_u32_e32 v40, s33, v42
	v_ashrrev_i32_e32 v2, 31, v40
	v_mov_b32_e32 v3, s37
	v_add_co_u32_e32 v4, vcc, s36, v40
	s_cmp_lt_i32 s52, 11
	v_addc_co_u32_e32 v5, vcc, v3, v2, vcc
	s_cbranch_scc1 .LBB7_1855
; %bb.1778:
	s_and_b32 s14, 0xffff, s52
	s_mov_b64 s[10:11], -1
	s_mov_b64 s[6:7], 0
	s_cmp_gt_i32 s14, 25
	s_mov_b64 s[8:9], 0
	s_mov_b64 s[4:5], 0
	s_cbranch_scc0 .LBB7_1811
; %bb.1779:
	s_cmp_gt_i32 s14, 28
	s_cbranch_scc0 .LBB7_1794
; %bb.1780:
	s_cmp_gt_i32 s14, 43
	;; [unrolled: 3-line block ×3, first 2 shown]
	s_cbranch_scc0 .LBB7_1784
; %bb.1782:
	s_mov_b64 s[4:5], -1
	s_mov_b64 s[10:11], 0
	s_cmp_eq_u32 s14, 46
	s_cbranch_scc0 .LBB7_1784
; %bb.1783:
	v_cvt_f32_f64_e32 v2, v[0:1]
	s_movk_i32 s4, 0x7fff
	v_mov_b32_e32 v3, 0x7fc0
	s_mov_b64 s[8:9], -1
	v_bfe_u32 v6, v2, 16, 1
	v_cmp_o_f32_e32 vcc, v2, v2
	v_add3_u32 v2, v2, v6, s4
	v_cndmask_b32_sdwa v2, v3, v2, vcc dst_sel:DWORD dst_unused:UNUSED_PAD src0_sel:DWORD src1_sel:WORD_1
	global_store_dword v[4:5], v2, off
	s_mov_b64 s[4:5], 0
.LBB7_1784:
	s_and_b64 vcc, exec, s[10:11]
	s_cbranch_vccz .LBB7_1789
; %bb.1785:
	s_cmp_eq_u32 s14, 44
	s_mov_b64 s[4:5], -1
	s_cbranch_scc0 .LBB7_1789
; %bb.1786:
	v_cvt_f32_f64_e32 v2, v[0:1]
	s_movk_i32 s4, 0xff
	v_mov_b32_e32 v6, 0xff
	v_bfe_u32 v3, v2, 23, 8
	v_cmp_ne_u32_e32 vcc, s4, v3
	s_and_saveexec_b64 s[8:9], vcc
; %bb.1787:
	s_mov_b32 s4, 0x3fffff
	v_lshrrev_b32_e32 v6, 23, v2
	v_and_b32_e32 v7, 0x400000, v2
	v_and_or_b32 v2, v2, s4, v3
	v_cmp_ne_u32_e32 vcc, 0, v7
	v_cmp_ne_u32_e64 s[4:5], 0, v2
	s_and_b64 s[4:5], vcc, s[4:5]
	v_cndmask_b32_e64 v2, 0, 1, s[4:5]
	v_add_u32_e32 v6, v6, v2
; %bb.1788:
	s_or_b64 exec, exec, s[8:9]
	s_mov_b64 s[4:5], 0
	s_mov_b64 s[8:9], -1
	global_store_byte v[4:5], v6, off
.LBB7_1789:
	s_mov_b64 s[10:11], 0
.LBB7_1790:
	s_and_b64 vcc, exec, s[10:11]
	s_cbranch_vccz .LBB7_1793
; %bb.1791:
	s_cmp_eq_u32 s14, 29
	s_mov_b64 s[4:5], -1
	s_cbranch_scc0 .LBB7_1793
; %bb.1792:
	v_trunc_f64_e32 v[2:3], v[0:1]
	s_movk_i32 s4, 0xffe0
	s_mov_b64 s[8:9], -1
	v_ldexp_f64 v[6:7], v[2:3], s4
	s_mov_b32 s4, 0
	s_mov_b32 s5, 0xc1f00000
	v_floor_f64_e32 v[6:7], v[6:7]
	v_fma_f64 v[2:3], v[6:7], s[4:5], v[2:3]
	v_cvt_u32_f64_e32 v7, v[6:7]
	s_mov_b64 s[4:5], 0
	v_cvt_u32_f64_e32 v6, v[2:3]
	global_store_dwordx2 v[4:5], v[6:7], off
.LBB7_1793:
	s_mov_b64 s[10:11], 0
.LBB7_1794:
	s_and_b64 vcc, exec, s[10:11]
	s_cbranch_vccz .LBB7_1810
; %bb.1795:
	s_cmp_lt_i32 s14, 27
	s_mov_b64 s[8:9], -1
	s_cbranch_scc1 .LBB7_1801
; %bb.1796:
	v_cvt_u32_f64_e32 v2, v[0:1]
	s_cmp_gt_i32 s14, 27
	s_cbranch_scc0 .LBB7_1798
; %bb.1797:
	s_mov_b64 s[8:9], 0
	global_store_dword v[4:5], v2, off
.LBB7_1798:
	s_andn2_b64 vcc, exec, s[8:9]
	s_cbranch_vccnz .LBB7_1800
; %bb.1799:
	global_store_short v[4:5], v2, off
.LBB7_1800:
	s_mov_b64 s[8:9], 0
.LBB7_1801:
	s_andn2_b64 vcc, exec, s[8:9]
	s_cbranch_vccnz .LBB7_1809
; %bb.1802:
	v_cvt_f32_f64_e32 v2, v[0:1]
	s_mov_b32 s8, 0x43800000
	v_mov_b32_e32 v6, 0x80
	v_and_b32_e32 v3, 0x7fffffff, v2
	v_cmp_gt_u32_e32 vcc, s8, v3
	s_and_saveexec_b64 s[8:9], vcc
	s_cbranch_execz .LBB7_1808
; %bb.1803:
	s_mov_b32 s10, 0x3bffffff
	v_cmp_lt_u32_e32 vcc, s10, v3
	s_mov_b64 s[10:11], 0
                                        ; implicit-def: $vgpr3
	s_and_saveexec_b64 s[12:13], vcc
	s_xor_b64 s[12:13], exec, s[12:13]
	s_cbranch_execz .LBB7_2029
; %bb.1804:
	v_bfe_u32 v3, v2, 20, 1
	s_mov_b32 s15, 0x487ffff
	v_add3_u32 v3, v2, v3, s15
	s_mov_b64 s[10:11], exec
	v_lshrrev_b32_e32 v3, 20, v3
	s_andn2_saveexec_b64 s[12:13], s[12:13]
	s_cbranch_execnz .LBB7_2030
.LBB7_1805:
	s_or_b64 exec, exec, s[12:13]
	v_mov_b32_e32 v6, 0
	s_and_saveexec_b64 s[12:13], s[10:11]
.LBB7_1806:
	v_lshrrev_b32_e32 v2, 24, v2
	s_movk_i32 s10, 0x80
	v_and_or_b32 v6, v2, s10, v3
.LBB7_1807:
	s_or_b64 exec, exec, s[12:13]
.LBB7_1808:
	s_or_b64 exec, exec, s[8:9]
	global_store_byte v[4:5], v6, off
.LBB7_1809:
	s_mov_b64 s[8:9], -1
.LBB7_1810:
	s_mov_b64 s[10:11], 0
.LBB7_1811:
	s_and_b64 vcc, exec, s[10:11]
	s_cbranch_vccz .LBB7_1851
; %bb.1812:
	s_cmp_gt_i32 s14, 22
	s_mov_b64 s[6:7], -1
	s_cbranch_scc0 .LBB7_1844
; %bb.1813:
	s_cmp_lt_i32 s14, 24
	s_cbranch_scc1 .LBB7_1833
; %bb.1814:
	s_cmp_gt_i32 s14, 24
	s_cbranch_scc0 .LBB7_1822
; %bb.1815:
	v_cvt_f32_f64_e32 v2, v[0:1]
	s_mov_b32 s6, 0x47800000
	v_mov_b32_e32 v6, 0x80
	v_and_b32_e32 v3, 0x7fffffff, v2
	v_cmp_gt_u32_e32 vcc, s6, v3
	s_and_saveexec_b64 s[6:7], vcc
	s_cbranch_execz .LBB7_1821
; %bb.1816:
	s_mov_b32 s8, 0x37ffffff
	v_cmp_lt_u32_e32 vcc, s8, v3
	s_mov_b64 s[8:9], 0
                                        ; implicit-def: $vgpr3
	s_and_saveexec_b64 s[10:11], vcc
	s_xor_b64 s[10:11], exec, s[10:11]
	s_cbranch_execz .LBB7_2032
; %bb.1817:
	v_bfe_u32 v3, v2, 21, 1
	s_mov_b32 s12, 0x88fffff
	v_add3_u32 v3, v2, v3, s12
	s_mov_b64 s[8:9], exec
	v_lshrrev_b32_e32 v3, 21, v3
	s_andn2_saveexec_b64 s[10:11], s[10:11]
	s_cbranch_execnz .LBB7_2033
.LBB7_1818:
	s_or_b64 exec, exec, s[10:11]
	v_mov_b32_e32 v6, 0
	s_and_saveexec_b64 s[10:11], s[8:9]
.LBB7_1819:
	v_lshrrev_b32_e32 v2, 24, v2
	s_movk_i32 s8, 0x80
	v_and_or_b32 v6, v2, s8, v3
.LBB7_1820:
	s_or_b64 exec, exec, s[10:11]
.LBB7_1821:
	s_or_b64 exec, exec, s[6:7]
	s_mov_b64 s[6:7], 0
	global_store_byte v[4:5], v6, off
.LBB7_1822:
	s_and_b64 vcc, exec, s[6:7]
	s_cbranch_vccz .LBB7_1832
; %bb.1823:
	v_cvt_f32_f64_e32 v2, v[0:1]
	s_mov_b32 s6, 0x43f00000
                                        ; implicit-def: $vgpr3
	v_and_b32_e32 v6, 0x7fffffff, v2
	v_cmp_gt_u32_e32 vcc, s6, v6
	s_and_saveexec_b64 s[6:7], vcc
	s_xor_b64 s[6:7], exec, s[6:7]
	s_cbranch_execz .LBB7_1829
; %bb.1824:
	s_mov_b32 s8, 0x3c7fffff
	v_cmp_lt_u32_e32 vcc, s8, v6
                                        ; implicit-def: $vgpr3
	s_and_saveexec_b64 s[8:9], vcc
	s_xor_b64 s[8:9], exec, s[8:9]
; %bb.1825:
	v_bfe_u32 v3, v2, 20, 1
	s_mov_b32 s10, 0x407ffff
	v_add3_u32 v3, v2, v3, s10
	v_lshrrev_b32_e32 v6, 20, v3
	v_and_b32_e32 v3, 0xff00000, v3
	s_mov_b32 s10, 0x7f00000
	v_mov_b32_e32 v7, 0x7e
	v_cmp_ne_u32_e32 vcc, s10, v3
	v_cndmask_b32_e32 v3, v7, v6, vcc
; %bb.1826:
	s_andn2_saveexec_b64 s[8:9], s[8:9]
; %bb.1827:
	s_mov_b32 s10, 0x46800000
	v_add_f32_e64 v3, |v2|, s10
; %bb.1828:
	s_or_b64 exec, exec, s[8:9]
                                        ; implicit-def: $vgpr6
.LBB7_1829:
	s_andn2_saveexec_b64 s[6:7], s[6:7]
; %bb.1830:
	s_mov_b32 s8, 0x7f800000
	v_mov_b32_e32 v3, 0x7e
	v_mov_b32_e32 v7, 0x7f
	v_cmp_lt_u32_e32 vcc, s8, v6
	v_cndmask_b32_e32 v3, v3, v7, vcc
; %bb.1831:
	s_or_b64 exec, exec, s[6:7]
	v_lshrrev_b32_e32 v2, 24, v2
	s_movk_i32 s6, 0x80
	v_and_or_b32 v2, v2, s6, v3
	global_store_byte v[4:5], v2, off
.LBB7_1832:
	s_mov_b64 s[6:7], 0
.LBB7_1833:
	s_andn2_b64 vcc, exec, s[6:7]
	s_cbranch_vccnz .LBB7_1843
; %bb.1834:
	v_cvt_f32_f64_e32 v2, v[0:1]
	s_mov_b32 s6, 0x47800000
                                        ; implicit-def: $vgpr3
	v_and_b32_e32 v6, 0x7fffffff, v2
	v_cmp_gt_u32_e32 vcc, s6, v6
	s_and_saveexec_b64 s[6:7], vcc
	s_xor_b64 s[6:7], exec, s[6:7]
	s_cbranch_execz .LBB7_1840
; %bb.1835:
	s_mov_b32 s8, 0x387fffff
	v_cmp_lt_u32_e32 vcc, s8, v6
                                        ; implicit-def: $vgpr3
	s_and_saveexec_b64 s[8:9], vcc
	s_xor_b64 s[8:9], exec, s[8:9]
; %bb.1836:
	v_bfe_u32 v3, v2, 21, 1
	s_mov_b32 s10, 0x80fffff
	v_add3_u32 v3, v2, v3, s10
	v_lshrrev_b32_e32 v3, 21, v3
; %bb.1837:
	s_andn2_saveexec_b64 s[8:9], s[8:9]
; %bb.1838:
	s_mov_b32 s10, 0x43000000
	v_add_f32_e64 v3, |v2|, s10
; %bb.1839:
	s_or_b64 exec, exec, s[8:9]
                                        ; implicit-def: $vgpr6
.LBB7_1840:
	s_andn2_saveexec_b64 s[6:7], s[6:7]
; %bb.1841:
	s_mov_b32 s8, 0x7f800000
	v_mov_b32_e32 v3, 0x7c
	v_mov_b32_e32 v7, 0x7f
	v_cmp_lt_u32_e32 vcc, s8, v6
	v_cndmask_b32_e32 v3, v3, v7, vcc
; %bb.1842:
	s_or_b64 exec, exec, s[6:7]
	v_lshrrev_b32_e32 v2, 24, v2
	s_movk_i32 s6, 0x80
	v_and_or_b32 v2, v2, s6, v3
	global_store_byte v[4:5], v2, off
.LBB7_1843:
	s_mov_b64 s[6:7], 0
	s_mov_b64 s[8:9], -1
.LBB7_1844:
	s_andn2_b64 vcc, exec, s[6:7]
	s_mov_b64 s[6:7], 0
	s_cbranch_vccnz .LBB7_1851
; %bb.1845:
	s_cmp_gt_i32 s14, 14
	s_mov_b64 s[10:11], -1
	s_cbranch_scc0 .LBB7_1849
; %bb.1846:
	s_cmp_eq_u32 s14, 15
	s_mov_b64 s[4:5], -1
	s_cbranch_scc0 .LBB7_1848
; %bb.1847:
	v_cvt_f32_f64_e32 v2, v[0:1]
	s_movk_i32 s4, 0x7fff
	v_mov_b32_e32 v3, 0x7fc0
	s_mov_b64 s[8:9], -1
	v_bfe_u32 v6, v2, 16, 1
	v_cmp_o_f32_e32 vcc, v2, v2
	v_add3_u32 v2, v2, v6, s4
	v_cndmask_b32_sdwa v2, v3, v2, vcc dst_sel:DWORD dst_unused:UNUSED_PAD src0_sel:DWORD src1_sel:WORD_1
	global_store_short v[4:5], v2, off
	s_mov_b64 s[4:5], 0
.LBB7_1848:
	s_mov_b64 s[10:11], 0
.LBB7_1849:
	s_and_b64 vcc, exec, s[10:11]
	s_cbranch_vccz .LBB7_1851
; %bb.1850:
	s_cmp_lg_u32 s14, 11
	s_mov_b64 s[6:7], -1
	s_cselect_b64 s[4:5], -1, 0
.LBB7_1851:
	s_and_b64 vcc, exec, s[4:5]
	s_cbranch_vccnz .LBB7_2031
; %bb.1852:
	s_andn2_b64 vcc, exec, s[6:7]
	s_cbranch_vccnz .LBB7_1854
.LBB7_1853:
	v_cmp_neq_f64_e32 vcc, 0, v[0:1]
	s_mov_b64 s[8:9], -1
	v_cndmask_b32_e64 v2, 0, 1, vcc
	global_store_byte v[4:5], v2, off
.LBB7_1854:
	s_mov_b64 s[4:5], 0
	s_branch .LBB7_1856
.LBB7_1855:
	s_mov_b64 s[4:5], -1
	s_mov_b64 s[8:9], 0
.LBB7_1856:
	s_and_b64 vcc, exec, s[4:5]
	s_cbranch_vccz .LBB7_1895
; %bb.1857:
	s_and_b32 s6, 0xffff, s52
	s_cmp_lt_i32 s6, 5
	s_mov_b64 s[4:5], -1
	s_cbranch_scc1 .LBB7_1878
; %bb.1858:
	s_cmp_lt_i32 s6, 8
	s_cbranch_scc1 .LBB7_1868
; %bb.1859:
	s_cmp_lt_i32 s6, 9
	s_cbranch_scc1 .LBB7_1865
; %bb.1860:
	s_cmp_gt_i32 s6, 9
	s_cbranch_scc0 .LBB7_1862
; %bb.1861:
	v_mov_b32_e32 v2, 0
	v_mov_b32_e32 v3, v2
	global_store_dwordx4 v[4:5], v[0:3], off
	s_mov_b64 s[4:5], 0
.LBB7_1862:
	s_andn2_b64 vcc, exec, s[4:5]
	s_cbranch_vccnz .LBB7_1864
; %bb.1863:
	v_cvt_f32_f64_e32 v2, v[0:1]
	v_mov_b32_e32 v3, 0
	global_store_dwordx2 v[4:5], v[2:3], off
.LBB7_1864:
	s_mov_b64 s[4:5], 0
.LBB7_1865:
	s_andn2_b64 vcc, exec, s[4:5]
	s_cbranch_vccnz .LBB7_1867
; %bb.1866:
	s_movk_i32 s4, 0x1ff
	v_and_or_b32 v2, v1, s4, v0
	v_cmp_ne_u32_e32 vcc, 0, v2
	v_cndmask_b32_e64 v2, 0, 1, vcc
	v_lshrrev_b32_e32 v3, 8, v1
	s_movk_i32 s4, 0xffe
	v_bfe_u32 v6, v1, 20, 11
	v_and_or_b32 v2, v3, s4, v2
	v_sub_u32_e32 v7, 0x3f1, v6
	v_or_b32_e32 v3, 0x1000, v2
	v_med3_i32 v7, v7, 0, 13
	v_lshrrev_b32_e32 v8, v7, v3
	v_lshlrev_b32_e32 v7, v7, v8
	v_cmp_ne_u32_e32 vcc, v7, v3
	v_cndmask_b32_e64 v3, 0, 1, vcc
	v_add_u32_e32 v6, 0xfffffc10, v6
	v_or_b32_e32 v3, v8, v3
	v_lshl_or_b32 v7, v6, 12, v2
	v_cmp_gt_i32_e32 vcc, 1, v6
	v_cndmask_b32_e32 v3, v7, v3, vcc
	v_and_b32_e32 v7, 7, v3
	v_cmp_lt_i32_e32 vcc, 5, v7
	v_cndmask_b32_e64 v8, 0, 1, vcc
	v_cmp_eq_u32_e32 vcc, 3, v7
	v_cndmask_b32_e64 v7, 0, 1, vcc
	v_or_b32_e32 v7, v7, v8
	v_lshrrev_b32_e32 v3, 2, v3
	v_add_u32_e32 v3, v3, v7
	v_mov_b32_e32 v7, 0x7c00
	v_cmp_gt_i32_e32 vcc, 31, v6
	v_cndmask_b32_e32 v3, v7, v3, vcc
	v_mov_b32_e32 v8, 0x7e00
	v_cmp_ne_u32_e32 vcc, 0, v2
	s_movk_i32 s4, 0x40f
	v_cndmask_b32_e32 v2, v7, v8, vcc
	v_cmp_eq_u32_e32 vcc, s4, v6
	v_cndmask_b32_e32 v2, v3, v2, vcc
	v_lshrrev_b32_e32 v3, 16, v1
	s_mov_b32 s4, 0x8000
	v_and_or_b32 v2, v3, s4, v2
	v_and_b32_e32 v2, 0xffff, v2
	global_store_dword v[4:5], v2, off
.LBB7_1867:
	s_mov_b64 s[4:5], 0
.LBB7_1868:
	s_andn2_b64 vcc, exec, s[4:5]
	s_cbranch_vccnz .LBB7_1877
; %bb.1869:
	s_cmp_lt_i32 s6, 6
	s_mov_b64 s[4:5], -1
	s_cbranch_scc1 .LBB7_1875
; %bb.1870:
	s_cmp_gt_i32 s6, 6
	s_cbranch_scc0 .LBB7_1872
; %bb.1871:
	global_store_dwordx2 v[4:5], v[0:1], off
	s_mov_b64 s[4:5], 0
.LBB7_1872:
	s_andn2_b64 vcc, exec, s[4:5]
	s_cbranch_vccnz .LBB7_1874
; %bb.1873:
	v_cvt_f32_f64_e32 v2, v[0:1]
	global_store_dword v[4:5], v2, off
.LBB7_1874:
	s_mov_b64 s[4:5], 0
.LBB7_1875:
	s_andn2_b64 vcc, exec, s[4:5]
	s_cbranch_vccnz .LBB7_1877
; %bb.1876:
	s_movk_i32 s4, 0x1ff
	v_and_or_b32 v2, v1, s4, v0
	v_cmp_ne_u32_e32 vcc, 0, v2
	v_cndmask_b32_e64 v2, 0, 1, vcc
	v_lshrrev_b32_e32 v3, 8, v1
	s_movk_i32 s4, 0xffe
	v_bfe_u32 v6, v1, 20, 11
	v_and_or_b32 v2, v3, s4, v2
	v_sub_u32_e32 v7, 0x3f1, v6
	v_or_b32_e32 v3, 0x1000, v2
	v_med3_i32 v7, v7, 0, 13
	v_lshrrev_b32_e32 v8, v7, v3
	v_lshlrev_b32_e32 v7, v7, v8
	v_cmp_ne_u32_e32 vcc, v7, v3
	v_cndmask_b32_e64 v3, 0, 1, vcc
	v_add_u32_e32 v6, 0xfffffc10, v6
	v_or_b32_e32 v3, v8, v3
	v_lshl_or_b32 v7, v6, 12, v2
	v_cmp_gt_i32_e32 vcc, 1, v6
	v_cndmask_b32_e32 v3, v7, v3, vcc
	v_and_b32_e32 v7, 7, v3
	v_cmp_lt_i32_e32 vcc, 5, v7
	v_cndmask_b32_e64 v8, 0, 1, vcc
	v_cmp_eq_u32_e32 vcc, 3, v7
	v_cndmask_b32_e64 v7, 0, 1, vcc
	v_or_b32_e32 v7, v7, v8
	v_lshrrev_b32_e32 v3, 2, v3
	v_add_u32_e32 v3, v3, v7
	v_mov_b32_e32 v7, 0x7c00
	v_cmp_gt_i32_e32 vcc, 31, v6
	v_cndmask_b32_e32 v3, v7, v3, vcc
	v_mov_b32_e32 v8, 0x7e00
	v_cmp_ne_u32_e32 vcc, 0, v2
	s_movk_i32 s4, 0x40f
	v_cndmask_b32_e32 v2, v7, v8, vcc
	v_cmp_eq_u32_e32 vcc, s4, v6
	v_cndmask_b32_e32 v2, v3, v2, vcc
	v_lshrrev_b32_e32 v3, 16, v1
	s_mov_b32 s4, 0x8000
	v_and_or_b32 v2, v3, s4, v2
	global_store_short v[4:5], v2, off
.LBB7_1877:
	s_mov_b64 s[4:5], 0
.LBB7_1878:
	s_andn2_b64 vcc, exec, s[4:5]
	s_cbranch_vccnz .LBB7_1894
; %bb.1879:
	s_cmp_lt_i32 s6, 2
	s_mov_b64 s[4:5], -1
	s_cbranch_scc1 .LBB7_1889
; %bb.1880:
	s_cmp_lt_i32 s6, 3
	s_cbranch_scc1 .LBB7_1886
; %bb.1881:
	s_cmp_gt_i32 s6, 3
	s_cbranch_scc0 .LBB7_1883
; %bb.1882:
	v_trunc_f64_e32 v[2:3], v[0:1]
	s_movk_i32 s4, 0xffe0
	v_ldexp_f64 v[6:7], v[2:3], s4
	s_mov_b32 s4, 0
	s_mov_b32 s5, 0xc1f00000
	v_floor_f64_e32 v[6:7], v[6:7]
	v_fma_f64 v[2:3], v[6:7], s[4:5], v[2:3]
	v_cvt_i32_f64_e32 v7, v[6:7]
	s_mov_b64 s[4:5], 0
	v_cvt_u32_f64_e32 v6, v[2:3]
	global_store_dwordx2 v[4:5], v[6:7], off
.LBB7_1883:
	s_andn2_b64 vcc, exec, s[4:5]
	s_cbranch_vccnz .LBB7_1885
; %bb.1884:
	v_cvt_i32_f64_e32 v2, v[0:1]
	global_store_dword v[4:5], v2, off
.LBB7_1885:
	s_mov_b64 s[4:5], 0
.LBB7_1886:
	s_andn2_b64 vcc, exec, s[4:5]
	s_cbranch_vccnz .LBB7_1888
; %bb.1887:
	v_cvt_i32_f64_e32 v2, v[0:1]
	global_store_short v[4:5], v2, off
.LBB7_1888:
	s_mov_b64 s[4:5], 0
.LBB7_1889:
	s_andn2_b64 vcc, exec, s[4:5]
	s_cbranch_vccnz .LBB7_1894
; %bb.1890:
	s_cmp_gt_i32 s6, 0
	s_mov_b64 s[4:5], -1
	s_cbranch_scc0 .LBB7_1892
; %bb.1891:
	v_cvt_i32_f64_e32 v2, v[0:1]
	s_mov_b64 s[4:5], 0
	global_store_byte v[4:5], v2, off
.LBB7_1892:
	s_andn2_b64 vcc, exec, s[4:5]
	s_cbranch_vccnz .LBB7_1894
; %bb.1893:
	v_trunc_f64_e32 v[0:1], v[0:1]
	s_movk_i32 s4, 0xffe0
	v_ldexp_f64 v[2:3], v[0:1], s4
	s_mov_b32 s4, 0
	s_mov_b32 s5, 0xc1f00000
	v_floor_f64_e32 v[2:3], v[2:3]
	v_fma_f64 v[0:1], v[2:3], s[4:5], v[0:1]
	v_cvt_u32_f64_e32 v0, v[0:1]
	global_store_byte v[4:5], v0, off
.LBB7_1894:
	s_mov_b64 s[8:9], -1
.LBB7_1895:
	s_andn2_b64 vcc, exec, s[8:9]
	s_cbranch_vccnz .LBB7_1972
; %bb.1896:
	s_getpc_b64 s[4:5]
	s_add_u32 s4, s4, _ZZZZN2at6native12_GLOBAL__N_121bessel_j1_kernel_cudaERNS_18TensorIteratorBaseEENKUlvE_clEvENKUlvE_clEvENKUldE_clEd@rel32@lo+4
	s_addc_u32 s5, s5, _ZZZZN2at6native12_GLOBAL__N_121bessel_j1_kernel_cudaERNS_18TensorIteratorBaseEENKUlvE_clEvENKUlvE_clEvENKUldE_clEd@rel32@hi+12
	v_mov_b32_e32 v0, v38
	v_mov_b32_e32 v1, v39
	s_swappc_b64 s[30:31], s[4:5]
	v_add_u32_e32 v2, s33, v40
	v_ashrrev_i32_e32 v3, 31, v2
	v_mov_b32_e32 v5, s37
	v_add_co_u32_e32 v4, vcc, s36, v2
	s_cmp_lt_i32 s52, 11
	v_addc_co_u32_e32 v5, vcc, v5, v3, vcc
	s_cbranch_scc1 .LBB7_2017
; %bb.1897:
	s_and_b32 s14, 0xffff, s52
	s_mov_b64 s[8:9], -1
	s_mov_b64 s[6:7], 0
	s_cmp_gt_i32 s14, 25
	s_mov_b64 s[4:5], 0
	s_cbranch_scc0 .LBB7_1930
; %bb.1898:
	s_cmp_gt_i32 s14, 28
	s_cbranch_scc0 .LBB7_1914
; %bb.1899:
	s_cmp_gt_i32 s14, 43
	;; [unrolled: 3-line block ×3, first 2 shown]
	s_cbranch_scc0 .LBB7_1904
; %bb.1901:
	s_cmp_eq_u32 s14, 46
	s_mov_b64 s[4:5], -1
	s_cbranch_scc0 .LBB7_1903
; %bb.1902:
	v_cvt_f32_f64_e32 v2, v[0:1]
	s_movk_i32 s4, 0x7fff
	v_mov_b32_e32 v3, 0x7fc0
	v_bfe_u32 v6, v2, 16, 1
	v_cmp_o_f32_e32 vcc, v2, v2
	v_add3_u32 v2, v2, v6, s4
	v_cndmask_b32_sdwa v2, v3, v2, vcc dst_sel:DWORD dst_unused:UNUSED_PAD src0_sel:DWORD src1_sel:WORD_1
	global_store_dword v[4:5], v2, off
	s_mov_b64 s[4:5], 0
.LBB7_1903:
	s_mov_b64 s[8:9], 0
.LBB7_1904:
	s_and_b64 vcc, exec, s[8:9]
	s_cbranch_vccz .LBB7_1909
; %bb.1905:
	s_cmp_eq_u32 s14, 44
	s_mov_b64 s[4:5], -1
	s_cbranch_scc0 .LBB7_1909
; %bb.1906:
	v_cvt_f32_f64_e32 v2, v[0:1]
	s_movk_i32 s4, 0xff
	v_mov_b32_e32 v6, 0xff
	v_bfe_u32 v3, v2, 23, 8
	v_cmp_ne_u32_e32 vcc, s4, v3
	s_and_saveexec_b64 s[8:9], vcc
; %bb.1907:
	s_mov_b32 s4, 0x3fffff
	v_lshrrev_b32_e32 v6, 23, v2
	v_and_b32_e32 v7, 0x400000, v2
	v_and_or_b32 v2, v2, s4, v3
	v_cmp_ne_u32_e32 vcc, 0, v7
	v_cmp_ne_u32_e64 s[4:5], 0, v2
	s_and_b64 s[4:5], vcc, s[4:5]
	v_cndmask_b32_e64 v2, 0, 1, s[4:5]
	v_add_u32_e32 v6, v6, v2
; %bb.1908:
	s_or_b64 exec, exec, s[8:9]
	s_mov_b64 s[4:5], 0
	global_store_byte v[4:5], v6, off
.LBB7_1909:
	s_mov_b64 s[8:9], 0
.LBB7_1910:
	s_and_b64 vcc, exec, s[8:9]
	s_cbranch_vccz .LBB7_1913
; %bb.1911:
	s_cmp_eq_u32 s14, 29
	s_mov_b64 s[4:5], -1
	s_cbranch_scc0 .LBB7_1913
; %bb.1912:
	v_trunc_f64_e32 v[2:3], v[0:1]
	s_movk_i32 s4, 0xffe0
	v_ldexp_f64 v[6:7], v[2:3], s4
	s_mov_b32 s4, 0
	s_mov_b32 s5, 0xc1f00000
	v_floor_f64_e32 v[6:7], v[6:7]
	v_fma_f64 v[2:3], v[6:7], s[4:5], v[2:3]
	v_cvt_u32_f64_e32 v7, v[6:7]
	s_mov_b64 s[4:5], 0
	v_cvt_u32_f64_e32 v6, v[2:3]
	global_store_dwordx2 v[4:5], v[6:7], off
.LBB7_1913:
	s_mov_b64 s[8:9], 0
.LBB7_1914:
	s_and_b64 vcc, exec, s[8:9]
	s_cbranch_vccz .LBB7_1929
; %bb.1915:
	s_cmp_lt_i32 s14, 27
	s_mov_b64 s[8:9], -1
	s_cbranch_scc1 .LBB7_1921
; %bb.1916:
	v_cvt_u32_f64_e32 v2, v[0:1]
	s_cmp_gt_i32 s14, 27
	s_cbranch_scc0 .LBB7_1918
; %bb.1917:
	global_store_dword v[4:5], v2, off
	s_mov_b64 s[8:9], 0
.LBB7_1918:
	s_andn2_b64 vcc, exec, s[8:9]
	s_cbranch_vccnz .LBB7_1920
; %bb.1919:
	global_store_short v[4:5], v2, off
.LBB7_1920:
	s_mov_b64 s[8:9], 0
.LBB7_1921:
	s_andn2_b64 vcc, exec, s[8:9]
	s_cbranch_vccnz .LBB7_1929
; %bb.1922:
	v_cvt_f32_f64_e32 v2, v[0:1]
	s_mov_b32 s8, 0x43800000
	v_mov_b32_e32 v6, 0x80
	v_and_b32_e32 v3, 0x7fffffff, v2
	v_cmp_gt_u32_e32 vcc, s8, v3
	s_and_saveexec_b64 s[8:9], vcc
	s_cbranch_execz .LBB7_1928
; %bb.1923:
	s_mov_b32 s10, 0x3bffffff
	v_cmp_lt_u32_e32 vcc, s10, v3
	s_mov_b64 s[10:11], 0
                                        ; implicit-def: $vgpr3
	s_and_saveexec_b64 s[12:13], vcc
	s_xor_b64 s[12:13], exec, s[12:13]
	s_cbranch_execz .LBB7_2034
; %bb.1924:
	v_bfe_u32 v3, v2, 20, 1
	s_mov_b32 s15, 0x487ffff
	v_add3_u32 v3, v2, v3, s15
	s_mov_b64 s[10:11], exec
	v_lshrrev_b32_e32 v3, 20, v3
	s_andn2_saveexec_b64 s[12:13], s[12:13]
	s_cbranch_execnz .LBB7_2035
.LBB7_1925:
	s_or_b64 exec, exec, s[12:13]
	v_mov_b32_e32 v6, 0
	s_and_saveexec_b64 s[12:13], s[10:11]
.LBB7_1926:
	v_lshrrev_b32_e32 v2, 24, v2
	s_movk_i32 s10, 0x80
	v_and_or_b32 v6, v2, s10, v3
.LBB7_1927:
	s_or_b64 exec, exec, s[12:13]
.LBB7_1928:
	s_or_b64 exec, exec, s[8:9]
	global_store_byte v[4:5], v6, off
.LBB7_1929:
	s_mov_b64 s[8:9], 0
.LBB7_1930:
	s_and_b64 vcc, exec, s[8:9]
	s_cbranch_vccz .LBB7_1970
; %bb.1931:
	s_cmp_gt_i32 s14, 22
	s_mov_b64 s[6:7], -1
	s_cbranch_scc0 .LBB7_1963
; %bb.1932:
	s_cmp_lt_i32 s14, 24
	s_cbranch_scc1 .LBB7_1952
; %bb.1933:
	s_cmp_gt_i32 s14, 24
	s_cbranch_scc0 .LBB7_1941
; %bb.1934:
	v_cvt_f32_f64_e32 v2, v[0:1]
	s_mov_b32 s6, 0x47800000
	v_mov_b32_e32 v6, 0x80
	v_and_b32_e32 v3, 0x7fffffff, v2
	v_cmp_gt_u32_e32 vcc, s6, v3
	s_and_saveexec_b64 s[6:7], vcc
	s_cbranch_execz .LBB7_1940
; %bb.1935:
	s_mov_b32 s8, 0x37ffffff
	v_cmp_lt_u32_e32 vcc, s8, v3
	s_mov_b64 s[8:9], 0
                                        ; implicit-def: $vgpr3
	s_and_saveexec_b64 s[10:11], vcc
	s_xor_b64 s[10:11], exec, s[10:11]
	s_cbranch_execz .LBB7_2037
; %bb.1936:
	v_bfe_u32 v3, v2, 21, 1
	s_mov_b32 s12, 0x88fffff
	v_add3_u32 v3, v2, v3, s12
	s_mov_b64 s[8:9], exec
	v_lshrrev_b32_e32 v3, 21, v3
	s_andn2_saveexec_b64 s[10:11], s[10:11]
	s_cbranch_execnz .LBB7_2038
.LBB7_1937:
	s_or_b64 exec, exec, s[10:11]
	v_mov_b32_e32 v6, 0
	s_and_saveexec_b64 s[10:11], s[8:9]
.LBB7_1938:
	v_lshrrev_b32_e32 v2, 24, v2
	s_movk_i32 s8, 0x80
	v_and_or_b32 v6, v2, s8, v3
.LBB7_1939:
	s_or_b64 exec, exec, s[10:11]
.LBB7_1940:
	s_or_b64 exec, exec, s[6:7]
	s_mov_b64 s[6:7], 0
	global_store_byte v[4:5], v6, off
.LBB7_1941:
	s_and_b64 vcc, exec, s[6:7]
	s_cbranch_vccz .LBB7_1951
; %bb.1942:
	v_cvt_f32_f64_e32 v2, v[0:1]
	s_mov_b32 s6, 0x43f00000
                                        ; implicit-def: $vgpr3
	v_and_b32_e32 v6, 0x7fffffff, v2
	v_cmp_gt_u32_e32 vcc, s6, v6
	s_and_saveexec_b64 s[6:7], vcc
	s_xor_b64 s[6:7], exec, s[6:7]
	s_cbranch_execz .LBB7_1948
; %bb.1943:
	s_mov_b32 s8, 0x3c7fffff
	v_cmp_lt_u32_e32 vcc, s8, v6
                                        ; implicit-def: $vgpr3
	s_and_saveexec_b64 s[8:9], vcc
	s_xor_b64 s[8:9], exec, s[8:9]
; %bb.1944:
	v_bfe_u32 v3, v2, 20, 1
	s_mov_b32 s10, 0x407ffff
	v_add3_u32 v3, v2, v3, s10
	v_lshrrev_b32_e32 v6, 20, v3
	v_and_b32_e32 v3, 0xff00000, v3
	s_mov_b32 s10, 0x7f00000
	v_mov_b32_e32 v7, 0x7e
	v_cmp_ne_u32_e32 vcc, s10, v3
	v_cndmask_b32_e32 v3, v7, v6, vcc
; %bb.1945:
	s_andn2_saveexec_b64 s[8:9], s[8:9]
; %bb.1946:
	s_mov_b32 s10, 0x46800000
	v_add_f32_e64 v3, |v2|, s10
; %bb.1947:
	s_or_b64 exec, exec, s[8:9]
                                        ; implicit-def: $vgpr6
.LBB7_1948:
	s_andn2_saveexec_b64 s[6:7], s[6:7]
; %bb.1949:
	s_mov_b32 s8, 0x7f800000
	v_mov_b32_e32 v3, 0x7e
	v_mov_b32_e32 v7, 0x7f
	v_cmp_lt_u32_e32 vcc, s8, v6
	v_cndmask_b32_e32 v3, v3, v7, vcc
; %bb.1950:
	s_or_b64 exec, exec, s[6:7]
	v_lshrrev_b32_e32 v2, 24, v2
	s_movk_i32 s6, 0x80
	v_and_or_b32 v2, v2, s6, v3
	global_store_byte v[4:5], v2, off
.LBB7_1951:
	s_mov_b64 s[6:7], 0
.LBB7_1952:
	s_andn2_b64 vcc, exec, s[6:7]
	s_cbranch_vccnz .LBB7_1962
; %bb.1953:
	v_cvt_f32_f64_e32 v2, v[0:1]
	s_mov_b32 s6, 0x47800000
                                        ; implicit-def: $vgpr3
	v_and_b32_e32 v6, 0x7fffffff, v2
	v_cmp_gt_u32_e32 vcc, s6, v6
	s_and_saveexec_b64 s[6:7], vcc
	s_xor_b64 s[6:7], exec, s[6:7]
	s_cbranch_execz .LBB7_1959
; %bb.1954:
	s_mov_b32 s8, 0x387fffff
	v_cmp_lt_u32_e32 vcc, s8, v6
                                        ; implicit-def: $vgpr3
	s_and_saveexec_b64 s[8:9], vcc
	s_xor_b64 s[8:9], exec, s[8:9]
; %bb.1955:
	v_bfe_u32 v3, v2, 21, 1
	s_mov_b32 s10, 0x80fffff
	v_add3_u32 v3, v2, v3, s10
	v_lshrrev_b32_e32 v3, 21, v3
; %bb.1956:
	s_andn2_saveexec_b64 s[8:9], s[8:9]
; %bb.1957:
	s_mov_b32 s10, 0x43000000
	v_add_f32_e64 v3, |v2|, s10
; %bb.1958:
	s_or_b64 exec, exec, s[8:9]
                                        ; implicit-def: $vgpr6
.LBB7_1959:
	s_andn2_saveexec_b64 s[6:7], s[6:7]
; %bb.1960:
	s_mov_b32 s8, 0x7f800000
	v_mov_b32_e32 v3, 0x7c
	v_mov_b32_e32 v7, 0x7f
	v_cmp_lt_u32_e32 vcc, s8, v6
	v_cndmask_b32_e32 v3, v3, v7, vcc
; %bb.1961:
	s_or_b64 exec, exec, s[6:7]
	v_lshrrev_b32_e32 v2, 24, v2
	s_movk_i32 s6, 0x80
	v_and_or_b32 v2, v2, s6, v3
	global_store_byte v[4:5], v2, off
.LBB7_1962:
	s_mov_b64 s[6:7], 0
.LBB7_1963:
	s_andn2_b64 vcc, exec, s[6:7]
	s_mov_b64 s[6:7], 0
	s_cbranch_vccnz .LBB7_1970
; %bb.1964:
	s_cmp_gt_i32 s14, 14
	s_mov_b64 s[8:9], -1
	s_cbranch_scc0 .LBB7_1968
; %bb.1965:
	s_cmp_eq_u32 s14, 15
	s_mov_b64 s[4:5], -1
	s_cbranch_scc0 .LBB7_1967
; %bb.1966:
	v_cvt_f32_f64_e32 v2, v[0:1]
	s_movk_i32 s4, 0x7fff
	v_mov_b32_e32 v3, 0x7fc0
	v_bfe_u32 v6, v2, 16, 1
	v_cmp_o_f32_e32 vcc, v2, v2
	v_add3_u32 v2, v2, v6, s4
	v_cndmask_b32_sdwa v2, v3, v2, vcc dst_sel:DWORD dst_unused:UNUSED_PAD src0_sel:DWORD src1_sel:WORD_1
	global_store_short v[4:5], v2, off
	s_mov_b64 s[4:5], 0
.LBB7_1967:
	s_mov_b64 s[8:9], 0
.LBB7_1968:
	s_and_b64 vcc, exec, s[8:9]
	s_cbranch_vccz .LBB7_1970
; %bb.1969:
	s_cmp_lg_u32 s14, 11
	s_mov_b64 s[6:7], -1
	s_cselect_b64 s[4:5], -1, 0
.LBB7_1970:
	s_and_b64 vcc, exec, s[4:5]
	s_cbranch_vccnz .LBB7_2036
.LBB7_1971:
	s_mov_b64 s[4:5], 0
	s_branch .LBB7_1973
.LBB7_1972:
	s_mov_b64 s[4:5], 0
	s_mov_b64 s[6:7], 0
                                        ; implicit-def: $sgpr52
                                        ; implicit-def: $vgpr4_vgpr5
                                        ; implicit-def: $vgpr0_vgpr1
.LBB7_1973:
	s_and_b64 s[44:45], s[6:7], exec
	s_andn2_b64 s[6:7], s[48:49], exec
	s_and_b64 s[8:9], s[50:51], exec
	s_and_b64 s[4:5], s[4:5], exec
	s_or_b64 s[48:49], s[6:7], s[8:9]
.LBB7_1974:
	s_or_b64 exec, exec, s[46:47]
	s_and_saveexec_b64 s[6:7], s[48:49]
	s_cbranch_execz .LBB7_1977
; %bb.1975:
	; divergent unreachable
	s_or_b64 exec, exec, s[6:7]
	s_and_saveexec_b64 s[6:7], s[44:45]
	s_xor_b64 s[6:7], exec, s[6:7]
	s_cbranch_execnz .LBB7_1978
.LBB7_1976:
	s_or_b64 exec, exec, s[6:7]
	s_and_saveexec_b64 s[6:7], s[4:5]
	s_cbranch_execnz .LBB7_1979
	s_branch .LBB7_2016
.LBB7_1977:
	s_or_b64 exec, exec, s[6:7]
	s_and_saveexec_b64 s[6:7], s[44:45]
	s_xor_b64 s[6:7], exec, s[6:7]
	s_cbranch_execz .LBB7_1976
.LBB7_1978:
	s_waitcnt vmcnt(0)
	v_cmp_neq_f64_e32 vcc, 0, v[0:1]
	v_cndmask_b32_e64 v2, 0, 1, vcc
	global_store_byte v[4:5], v2, off
	s_or_b64 exec, exec, s[6:7]
	s_and_saveexec_b64 s[6:7], s[4:5]
	s_cbranch_execz .LBB7_2016
.LBB7_1979:
	s_sext_i32_i16 s6, s52
	s_cmp_lt_i32 s6, 5
	s_mov_b64 s[4:5], -1
	s_cbranch_scc1 .LBB7_2000
; %bb.1980:
	s_cmp_lt_i32 s6, 8
	s_cbranch_scc1 .LBB7_1990
; %bb.1981:
	s_cmp_lt_i32 s6, 9
	s_cbranch_scc1 .LBB7_1987
; %bb.1982:
	s_cmp_gt_i32 s6, 9
	s_cbranch_scc0 .LBB7_1984
; %bb.1983:
	s_waitcnt vmcnt(0)
	v_mov_b32_e32 v2, 0
	v_mov_b32_e32 v3, v2
	global_store_dwordx4 v[4:5], v[0:3], off
	s_mov_b64 s[4:5], 0
.LBB7_1984:
	s_andn2_b64 vcc, exec, s[4:5]
	s_cbranch_vccnz .LBB7_1986
; %bb.1985:
	s_waitcnt vmcnt(0)
	v_cvt_f32_f64_e32 v2, v[0:1]
	v_mov_b32_e32 v3, 0
	global_store_dwordx2 v[4:5], v[2:3], off
.LBB7_1986:
	s_mov_b64 s[4:5], 0
.LBB7_1987:
	s_andn2_b64 vcc, exec, s[4:5]
	s_cbranch_vccnz .LBB7_1989
; %bb.1988:
	s_movk_i32 s4, 0x1ff
	s_waitcnt vmcnt(0)
	v_and_or_b32 v2, v1, s4, v0
	v_cmp_ne_u32_e32 vcc, 0, v2
	v_cndmask_b32_e64 v2, 0, 1, vcc
	v_lshrrev_b32_e32 v3, 8, v1
	s_movk_i32 s4, 0xffe
	v_bfe_u32 v6, v1, 20, 11
	v_and_or_b32 v2, v3, s4, v2
	v_sub_u32_e32 v7, 0x3f1, v6
	v_or_b32_e32 v3, 0x1000, v2
	v_med3_i32 v7, v7, 0, 13
	v_lshrrev_b32_e32 v8, v7, v3
	v_lshlrev_b32_e32 v7, v7, v8
	v_cmp_ne_u32_e32 vcc, v7, v3
	v_cndmask_b32_e64 v3, 0, 1, vcc
	v_add_u32_e32 v6, 0xfffffc10, v6
	v_or_b32_e32 v3, v8, v3
	v_lshl_or_b32 v7, v6, 12, v2
	v_cmp_gt_i32_e32 vcc, 1, v6
	v_cndmask_b32_e32 v3, v7, v3, vcc
	v_and_b32_e32 v7, 7, v3
	v_cmp_lt_i32_e32 vcc, 5, v7
	v_cndmask_b32_e64 v8, 0, 1, vcc
	v_cmp_eq_u32_e32 vcc, 3, v7
	v_cndmask_b32_e64 v7, 0, 1, vcc
	v_or_b32_e32 v7, v7, v8
	v_lshrrev_b32_e32 v3, 2, v3
	v_add_u32_e32 v3, v3, v7
	v_mov_b32_e32 v7, 0x7c00
	v_cmp_gt_i32_e32 vcc, 31, v6
	v_cndmask_b32_e32 v3, v7, v3, vcc
	v_mov_b32_e32 v8, 0x7e00
	v_cmp_ne_u32_e32 vcc, 0, v2
	s_movk_i32 s4, 0x40f
	v_cndmask_b32_e32 v2, v7, v8, vcc
	v_cmp_eq_u32_e32 vcc, s4, v6
	v_cndmask_b32_e32 v2, v3, v2, vcc
	v_lshrrev_b32_e32 v3, 16, v1
	s_mov_b32 s4, 0x8000
	v_and_or_b32 v2, v3, s4, v2
	v_and_b32_e32 v2, 0xffff, v2
	global_store_dword v[4:5], v2, off
.LBB7_1989:
	s_mov_b64 s[4:5], 0
.LBB7_1990:
	s_andn2_b64 vcc, exec, s[4:5]
	s_cbranch_vccnz .LBB7_1999
; %bb.1991:
	s_sext_i32_i16 s6, s52
	s_cmp_lt_i32 s6, 6
	s_mov_b64 s[4:5], -1
	s_cbranch_scc1 .LBB7_1997
; %bb.1992:
	s_cmp_gt_i32 s6, 6
	s_cbranch_scc0 .LBB7_1994
; %bb.1993:
	s_waitcnt vmcnt(0)
	global_store_dwordx2 v[4:5], v[0:1], off
	s_mov_b64 s[4:5], 0
.LBB7_1994:
	s_andn2_b64 vcc, exec, s[4:5]
	s_cbranch_vccnz .LBB7_1996
; %bb.1995:
	s_waitcnt vmcnt(0)
	v_cvt_f32_f64_e32 v2, v[0:1]
	global_store_dword v[4:5], v2, off
.LBB7_1996:
	s_mov_b64 s[4:5], 0
.LBB7_1997:
	s_andn2_b64 vcc, exec, s[4:5]
	s_cbranch_vccnz .LBB7_1999
; %bb.1998:
	s_movk_i32 s4, 0x1ff
	s_waitcnt vmcnt(0)
	v_and_or_b32 v2, v1, s4, v0
	v_cmp_ne_u32_e32 vcc, 0, v2
	v_cndmask_b32_e64 v2, 0, 1, vcc
	v_lshrrev_b32_e32 v3, 8, v1
	s_movk_i32 s4, 0xffe
	v_bfe_u32 v6, v1, 20, 11
	v_and_or_b32 v2, v3, s4, v2
	v_sub_u32_e32 v7, 0x3f1, v6
	v_or_b32_e32 v3, 0x1000, v2
	v_med3_i32 v7, v7, 0, 13
	v_lshrrev_b32_e32 v8, v7, v3
	v_lshlrev_b32_e32 v7, v7, v8
	v_cmp_ne_u32_e32 vcc, v7, v3
	v_cndmask_b32_e64 v3, 0, 1, vcc
	v_add_u32_e32 v6, 0xfffffc10, v6
	v_or_b32_e32 v3, v8, v3
	v_lshl_or_b32 v7, v6, 12, v2
	v_cmp_gt_i32_e32 vcc, 1, v6
	v_cndmask_b32_e32 v3, v7, v3, vcc
	v_and_b32_e32 v7, 7, v3
	v_cmp_lt_i32_e32 vcc, 5, v7
	v_cndmask_b32_e64 v8, 0, 1, vcc
	v_cmp_eq_u32_e32 vcc, 3, v7
	v_cndmask_b32_e64 v7, 0, 1, vcc
	v_or_b32_e32 v7, v7, v8
	v_lshrrev_b32_e32 v3, 2, v3
	v_add_u32_e32 v3, v3, v7
	v_mov_b32_e32 v7, 0x7c00
	v_cmp_gt_i32_e32 vcc, 31, v6
	v_cndmask_b32_e32 v3, v7, v3, vcc
	v_mov_b32_e32 v8, 0x7e00
	v_cmp_ne_u32_e32 vcc, 0, v2
	s_movk_i32 s4, 0x40f
	v_cndmask_b32_e32 v2, v7, v8, vcc
	v_cmp_eq_u32_e32 vcc, s4, v6
	v_cndmask_b32_e32 v2, v3, v2, vcc
	v_lshrrev_b32_e32 v3, 16, v1
	s_mov_b32 s4, 0x8000
	v_and_or_b32 v2, v3, s4, v2
	global_store_short v[4:5], v2, off
.LBB7_1999:
	s_mov_b64 s[4:5], 0
.LBB7_2000:
	s_andn2_b64 vcc, exec, s[4:5]
	s_cbranch_vccnz .LBB7_2016
; %bb.2001:
	s_sext_i32_i16 s6, s52
	s_cmp_lt_i32 s6, 2
	s_mov_b64 s[4:5], -1
	s_cbranch_scc1 .LBB7_2011
; %bb.2002:
	s_cmp_lt_i32 s6, 3
	s_cbranch_scc1 .LBB7_2008
; %bb.2003:
	s_cmp_gt_i32 s6, 3
	s_cbranch_scc0 .LBB7_2005
; %bb.2004:
	s_waitcnt vmcnt(0)
	v_trunc_f64_e32 v[2:3], v[0:1]
	s_movk_i32 s4, 0xffe0
	v_ldexp_f64 v[6:7], v[2:3], s4
	s_mov_b32 s4, 0
	s_mov_b32 s5, 0xc1f00000
	v_floor_f64_e32 v[6:7], v[6:7]
	v_fma_f64 v[2:3], v[6:7], s[4:5], v[2:3]
	v_cvt_i32_f64_e32 v7, v[6:7]
	s_mov_b64 s[4:5], 0
	v_cvt_u32_f64_e32 v6, v[2:3]
	global_store_dwordx2 v[4:5], v[6:7], off
.LBB7_2005:
	s_andn2_b64 vcc, exec, s[4:5]
	s_cbranch_vccnz .LBB7_2007
; %bb.2006:
	s_waitcnt vmcnt(0)
	v_cvt_i32_f64_e32 v2, v[0:1]
	global_store_dword v[4:5], v2, off
.LBB7_2007:
	s_mov_b64 s[4:5], 0
.LBB7_2008:
	s_andn2_b64 vcc, exec, s[4:5]
	s_cbranch_vccnz .LBB7_2010
; %bb.2009:
	s_waitcnt vmcnt(0)
	v_cvt_i32_f64_e32 v2, v[0:1]
	global_store_short v[4:5], v2, off
.LBB7_2010:
	s_mov_b64 s[4:5], 0
.LBB7_2011:
	s_andn2_b64 vcc, exec, s[4:5]
	s_cbranch_vccnz .LBB7_2016
; %bb.2012:
	s_sext_i32_i16 s4, s52
	s_cmp_gt_i32 s4, 0
	s_mov_b64 s[4:5], -1
	s_cbranch_scc0 .LBB7_2014
; %bb.2013:
	s_waitcnt vmcnt(0)
	v_cvt_i32_f64_e32 v2, v[0:1]
	s_mov_b64 s[4:5], 0
	global_store_byte v[4:5], v2, off
.LBB7_2014:
	s_andn2_b64 vcc, exec, s[4:5]
	s_cbranch_vccnz .LBB7_2016
; %bb.2015:
	s_waitcnt vmcnt(0)
	v_trunc_f64_e32 v[0:1], v[0:1]
	s_movk_i32 s4, 0xffe0
	v_ldexp_f64 v[2:3], v[0:1], s4
	s_mov_b32 s4, 0
	s_mov_b32 s5, 0xc1f00000
	v_floor_f64_e32 v[2:3], v[2:3]
	v_fma_f64 v[0:1], v[2:3], s[4:5], v[0:1]
	v_cvt_u32_f64_e32 v0, v[0:1]
	global_store_byte v[4:5], v0, off
	s_endpgm
.LBB7_2016:
	s_endpgm
.LBB7_2017:
	s_mov_b64 s[6:7], 0
	s_mov_b64 s[4:5], -1
	s_branch .LBB7_1973
.LBB7_2018:
	s_trap 2
	s_or_b64 s[50:51], s[50:51], exec
	s_cbranch_execz .LBB7_1487
	s_branch .LBB7_1488
.LBB7_2019:
	s_andn2_saveexec_b64 s[12:13], s[12:13]
	s_cbranch_execz .LBB7_1567
.LBB7_2020:
	s_mov_b32 s15, 0x46000000
	v_add_f32_e64 v3, |v2|, s15
	v_and_b32_e32 v3, 0xff, v3
	v_cmp_ne_u32_e32 vcc, 0, v3
	s_andn2_b64 s[10:11], s[10:11], exec
	s_and_b64 s[16:17], vcc, exec
	s_or_b64 s[10:11], s[10:11], s[16:17]
	s_or_b64 exec, exec, s[12:13]
	v_mov_b32_e32 v6, 0
	s_and_saveexec_b64 s[12:13], s[10:11]
	s_cbranch_execnz .LBB7_1568
	s_branch .LBB7_1569
.LBB7_2021:
	s_trap 2
	s_or_b64 s[50:51], s[50:51], exec
	s_cbranch_execz .LBB7_1615
	s_branch .LBB7_1616
.LBB7_2022:
	s_andn2_saveexec_b64 s[10:11], s[10:11]
	s_cbranch_execz .LBB7_1580
.LBB7_2023:
	s_mov_b32 s12, 0x42800000
	v_add_f32_e64 v3, |v2|, s12
	v_and_b32_e32 v3, 0xff, v3
	v_cmp_ne_u32_e32 vcc, 0, v3
	s_andn2_b64 s[8:9], s[8:9], exec
	s_and_b64 s[12:13], vcc, exec
	s_or_b64 s[8:9], s[8:9], s[12:13]
	s_or_b64 exec, exec, s[10:11]
	v_mov_b32_e32 v6, 0
	s_and_saveexec_b64 s[10:11], s[8:9]
	s_cbranch_execnz .LBB7_1581
	s_branch .LBB7_1582
.LBB7_2024:
	s_andn2_saveexec_b64 s[12:13], s[12:13]
	s_cbranch_execz .LBB7_1686
.LBB7_2025:
	s_mov_b32 s15, 0x46000000
	v_add_f32_e64 v3, |v2|, s15
	v_and_b32_e32 v3, 0xff, v3
	v_cmp_ne_u32_e32 vcc, 0, v3
	s_andn2_b64 s[10:11], s[10:11], exec
	s_and_b64 s[16:17], vcc, exec
	s_or_b64 s[10:11], s[10:11], s[16:17]
	s_or_b64 exec, exec, s[12:13]
	v_mov_b32_e32 v6, 0
	s_and_saveexec_b64 s[12:13], s[10:11]
	s_cbranch_execnz .LBB7_1687
	s_branch .LBB7_1688
.LBB7_2026:
	s_trap 2
	s_or_b64 s[50:51], s[50:51], exec
	s_cbranch_execz .LBB7_1734
	s_branch .LBB7_1735
.LBB7_2027:
	s_andn2_saveexec_b64 s[10:11], s[10:11]
	s_cbranch_execz .LBB7_1699
.LBB7_2028:
	s_mov_b32 s12, 0x42800000
	v_add_f32_e64 v3, |v2|, s12
	v_and_b32_e32 v3, 0xff, v3
	v_cmp_ne_u32_e32 vcc, 0, v3
	s_andn2_b64 s[8:9], s[8:9], exec
	s_and_b64 s[12:13], vcc, exec
	s_or_b64 s[8:9], s[8:9], s[12:13]
	s_or_b64 exec, exec, s[10:11]
	v_mov_b32_e32 v6, 0
	s_and_saveexec_b64 s[10:11], s[8:9]
	s_cbranch_execnz .LBB7_1700
	s_branch .LBB7_1701
.LBB7_2029:
	s_andn2_saveexec_b64 s[12:13], s[12:13]
	s_cbranch_execz .LBB7_1805
.LBB7_2030:
	s_mov_b32 s15, 0x46000000
	v_add_f32_e64 v3, |v2|, s15
	v_and_b32_e32 v3, 0xff, v3
	v_cmp_ne_u32_e32 vcc, 0, v3
	s_andn2_b64 s[10:11], s[10:11], exec
	s_and_b64 s[16:17], vcc, exec
	s_or_b64 s[10:11], s[10:11], s[16:17]
	s_or_b64 exec, exec, s[12:13]
	v_mov_b32_e32 v6, 0
	s_and_saveexec_b64 s[12:13], s[10:11]
	s_cbranch_execnz .LBB7_1806
	s_branch .LBB7_1807
.LBB7_2031:
	s_trap 2
	s_or_b64 s[50:51], s[50:51], exec
	s_cbranch_execz .LBB7_1853
	s_branch .LBB7_1854
.LBB7_2032:
	s_andn2_saveexec_b64 s[10:11], s[10:11]
	s_cbranch_execz .LBB7_1818
.LBB7_2033:
	s_mov_b32 s12, 0x42800000
	v_add_f32_e64 v3, |v2|, s12
	v_and_b32_e32 v3, 0xff, v3
	v_cmp_ne_u32_e32 vcc, 0, v3
	s_andn2_b64 s[8:9], s[8:9], exec
	s_and_b64 s[12:13], vcc, exec
	s_or_b64 s[8:9], s[8:9], s[12:13]
	s_or_b64 exec, exec, s[10:11]
	v_mov_b32_e32 v6, 0
	s_and_saveexec_b64 s[10:11], s[8:9]
	s_cbranch_execnz .LBB7_1819
	s_branch .LBB7_1820
.LBB7_2034:
	s_andn2_saveexec_b64 s[12:13], s[12:13]
	s_cbranch_execz .LBB7_1925
.LBB7_2035:
	s_mov_b32 s15, 0x46000000
	v_add_f32_e64 v3, |v2|, s15
	v_and_b32_e32 v3, 0xff, v3
	v_cmp_ne_u32_e32 vcc, 0, v3
	s_andn2_b64 s[10:11], s[10:11], exec
	s_and_b64 s[16:17], vcc, exec
	s_or_b64 s[10:11], s[10:11], s[16:17]
	s_or_b64 exec, exec, s[12:13]
	v_mov_b32_e32 v6, 0
	s_and_saveexec_b64 s[12:13], s[10:11]
	s_cbranch_execnz .LBB7_1926
	s_branch .LBB7_1927
.LBB7_2036:
	s_mov_b64 s[6:7], 0
	s_or_b64 s[50:51], s[50:51], exec
	s_trap 2
	s_branch .LBB7_1971
.LBB7_2037:
	s_andn2_saveexec_b64 s[10:11], s[10:11]
	s_cbranch_execz .LBB7_1937
.LBB7_2038:
	s_mov_b32 s12, 0x42800000
	v_add_f32_e64 v3, |v2|, s12
	v_and_b32_e32 v3, 0xff, v3
	v_cmp_ne_u32_e32 vcc, 0, v3
	s_andn2_b64 s[8:9], s[8:9], exec
	s_and_b64 s[12:13], vcc, exec
	s_or_b64 s[8:9], s[8:9], s[12:13]
	s_or_b64 exec, exec, s[10:11]
	v_mov_b32_e32 v6, 0
	s_and_saveexec_b64 s[10:11], s[8:9]
	s_cbranch_execnz .LBB7_1938
	s_branch .LBB7_1939
	.section	.rodata,"a",@progbits
	.p2align	6, 0x0
	.amdhsa_kernel _ZN2at6native32elementwise_kernel_manual_unrollILi128ELi4EZNS0_15gpu_kernel_implIZZZNS0_12_GLOBAL__N_121bessel_j1_kernel_cudaERNS_18TensorIteratorBaseEENKUlvE_clEvENKUlvE_clEvEUldE_EEvS5_RKT_EUlibE_EEviT1_
		.amdhsa_group_segment_fixed_size 0
		.amdhsa_private_segment_fixed_size 0
		.amdhsa_kernarg_size 40
		.amdhsa_user_sgpr_count 6
		.amdhsa_user_sgpr_private_segment_buffer 1
		.amdhsa_user_sgpr_dispatch_ptr 0
		.amdhsa_user_sgpr_queue_ptr 0
		.amdhsa_user_sgpr_kernarg_segment_ptr 1
		.amdhsa_user_sgpr_dispatch_id 0
		.amdhsa_user_sgpr_flat_scratch_init 0
		.amdhsa_user_sgpr_private_segment_size 0
		.amdhsa_uses_dynamic_stack 0
		.amdhsa_system_sgpr_private_segment_wavefront_offset 0
		.amdhsa_system_sgpr_workgroup_id_x 1
		.amdhsa_system_sgpr_workgroup_id_y 0
		.amdhsa_system_sgpr_workgroup_id_z 0
		.amdhsa_system_sgpr_workgroup_info 0
		.amdhsa_system_vgpr_workitem_id 0
		.amdhsa_next_free_vgpr 45
		.amdhsa_next_free_sgpr 66
		.amdhsa_reserve_vcc 1
		.amdhsa_reserve_flat_scratch 0
		.amdhsa_float_round_mode_32 0
		.amdhsa_float_round_mode_16_64 0
		.amdhsa_float_denorm_mode_32 3
		.amdhsa_float_denorm_mode_16_64 3
		.amdhsa_dx10_clamp 1
		.amdhsa_ieee_mode 1
		.amdhsa_fp16_overflow 0
		.amdhsa_exception_fp_ieee_invalid_op 0
		.amdhsa_exception_fp_denorm_src 0
		.amdhsa_exception_fp_ieee_div_zero 0
		.amdhsa_exception_fp_ieee_overflow 0
		.amdhsa_exception_fp_ieee_underflow 0
		.amdhsa_exception_fp_ieee_inexact 0
		.amdhsa_exception_int_div_zero 0
	.end_amdhsa_kernel
	.section	.text._ZN2at6native32elementwise_kernel_manual_unrollILi128ELi4EZNS0_15gpu_kernel_implIZZZNS0_12_GLOBAL__N_121bessel_j1_kernel_cudaERNS_18TensorIteratorBaseEENKUlvE_clEvENKUlvE_clEvEUldE_EEvS5_RKT_EUlibE_EEviT1_,"axG",@progbits,_ZN2at6native32elementwise_kernel_manual_unrollILi128ELi4EZNS0_15gpu_kernel_implIZZZNS0_12_GLOBAL__N_121bessel_j1_kernel_cudaERNS_18TensorIteratorBaseEENKUlvE_clEvENKUlvE_clEvEUldE_EEvS5_RKT_EUlibE_EEviT1_,comdat
.Lfunc_end7:
	.size	_ZN2at6native32elementwise_kernel_manual_unrollILi128ELi4EZNS0_15gpu_kernel_implIZZZNS0_12_GLOBAL__N_121bessel_j1_kernel_cudaERNS_18TensorIteratorBaseEENKUlvE_clEvENKUlvE_clEvEUldE_EEvS5_RKT_EUlibE_EEviT1_, .Lfunc_end7-_ZN2at6native32elementwise_kernel_manual_unrollILi128ELi4EZNS0_15gpu_kernel_implIZZZNS0_12_GLOBAL__N_121bessel_j1_kernel_cudaERNS_18TensorIteratorBaseEENKUlvE_clEvENKUlvE_clEvEUldE_EEvS5_RKT_EUlibE_EEviT1_
                                        ; -- End function
	.set _ZN2at6native32elementwise_kernel_manual_unrollILi128ELi4EZNS0_15gpu_kernel_implIZZZNS0_12_GLOBAL__N_121bessel_j1_kernel_cudaERNS_18TensorIteratorBaseEENKUlvE_clEvENKUlvE_clEvEUldE_EEvS5_RKT_EUlibE_EEviT1_.num_vgpr, max(45, .L_ZZZZN2at6native12_GLOBAL__N_121bessel_j1_kernel_cudaERNS_18TensorIteratorBaseEENKUlvE_clEvENKUlvE_clEvENKUldE_clEd.num_vgpr)
	.set _ZN2at6native32elementwise_kernel_manual_unrollILi128ELi4EZNS0_15gpu_kernel_implIZZZNS0_12_GLOBAL__N_121bessel_j1_kernel_cudaERNS_18TensorIteratorBaseEENKUlvE_clEvENKUlvE_clEvEUldE_EEvS5_RKT_EUlibE_EEviT1_.num_agpr, max(0, .L_ZZZZN2at6native12_GLOBAL__N_121bessel_j1_kernel_cudaERNS_18TensorIteratorBaseEENKUlvE_clEvENKUlvE_clEvENKUldE_clEd.num_agpr)
	.set _ZN2at6native32elementwise_kernel_manual_unrollILi128ELi4EZNS0_15gpu_kernel_implIZZZNS0_12_GLOBAL__N_121bessel_j1_kernel_cudaERNS_18TensorIteratorBaseEENKUlvE_clEvENKUlvE_clEvEUldE_EEvS5_RKT_EUlibE_EEviT1_.numbered_sgpr, max(66, .L_ZZZZN2at6native12_GLOBAL__N_121bessel_j1_kernel_cudaERNS_18TensorIteratorBaseEENKUlvE_clEvENKUlvE_clEvENKUldE_clEd.numbered_sgpr)
	.set _ZN2at6native32elementwise_kernel_manual_unrollILi128ELi4EZNS0_15gpu_kernel_implIZZZNS0_12_GLOBAL__N_121bessel_j1_kernel_cudaERNS_18TensorIteratorBaseEENKUlvE_clEvENKUlvE_clEvEUldE_EEvS5_RKT_EUlibE_EEviT1_.num_named_barrier, max(0, .L_ZZZZN2at6native12_GLOBAL__N_121bessel_j1_kernel_cudaERNS_18TensorIteratorBaseEENKUlvE_clEvENKUlvE_clEvENKUldE_clEd.num_named_barrier)
	.set _ZN2at6native32elementwise_kernel_manual_unrollILi128ELi4EZNS0_15gpu_kernel_implIZZZNS0_12_GLOBAL__N_121bessel_j1_kernel_cudaERNS_18TensorIteratorBaseEENKUlvE_clEvENKUlvE_clEvEUldE_EEvS5_RKT_EUlibE_EEviT1_.private_seg_size, 0+max(.L_ZZZZN2at6native12_GLOBAL__N_121bessel_j1_kernel_cudaERNS_18TensorIteratorBaseEENKUlvE_clEvENKUlvE_clEvENKUldE_clEd.private_seg_size)
	.set _ZN2at6native32elementwise_kernel_manual_unrollILi128ELi4EZNS0_15gpu_kernel_implIZZZNS0_12_GLOBAL__N_121bessel_j1_kernel_cudaERNS_18TensorIteratorBaseEENKUlvE_clEvENKUlvE_clEvEUldE_EEvS5_RKT_EUlibE_EEviT1_.uses_vcc, or(1, .L_ZZZZN2at6native12_GLOBAL__N_121bessel_j1_kernel_cudaERNS_18TensorIteratorBaseEENKUlvE_clEvENKUlvE_clEvENKUldE_clEd.uses_vcc)
	.set _ZN2at6native32elementwise_kernel_manual_unrollILi128ELi4EZNS0_15gpu_kernel_implIZZZNS0_12_GLOBAL__N_121bessel_j1_kernel_cudaERNS_18TensorIteratorBaseEENKUlvE_clEvENKUlvE_clEvEUldE_EEvS5_RKT_EUlibE_EEviT1_.uses_flat_scratch, or(0, .L_ZZZZN2at6native12_GLOBAL__N_121bessel_j1_kernel_cudaERNS_18TensorIteratorBaseEENKUlvE_clEvENKUlvE_clEvENKUldE_clEd.uses_flat_scratch)
	.set _ZN2at6native32elementwise_kernel_manual_unrollILi128ELi4EZNS0_15gpu_kernel_implIZZZNS0_12_GLOBAL__N_121bessel_j1_kernel_cudaERNS_18TensorIteratorBaseEENKUlvE_clEvENKUlvE_clEvEUldE_EEvS5_RKT_EUlibE_EEviT1_.has_dyn_sized_stack, or(0, .L_ZZZZN2at6native12_GLOBAL__N_121bessel_j1_kernel_cudaERNS_18TensorIteratorBaseEENKUlvE_clEvENKUlvE_clEvENKUldE_clEd.has_dyn_sized_stack)
	.set _ZN2at6native32elementwise_kernel_manual_unrollILi128ELi4EZNS0_15gpu_kernel_implIZZZNS0_12_GLOBAL__N_121bessel_j1_kernel_cudaERNS_18TensorIteratorBaseEENKUlvE_clEvENKUlvE_clEvEUldE_EEvS5_RKT_EUlibE_EEviT1_.has_recursion, or(0, .L_ZZZZN2at6native12_GLOBAL__N_121bessel_j1_kernel_cudaERNS_18TensorIteratorBaseEENKUlvE_clEvENKUlvE_clEvENKUldE_clEd.has_recursion)
	.set _ZN2at6native32elementwise_kernel_manual_unrollILi128ELi4EZNS0_15gpu_kernel_implIZZZNS0_12_GLOBAL__N_121bessel_j1_kernel_cudaERNS_18TensorIteratorBaseEENKUlvE_clEvENKUlvE_clEvEUldE_EEvS5_RKT_EUlibE_EEviT1_.has_indirect_call, or(0, .L_ZZZZN2at6native12_GLOBAL__N_121bessel_j1_kernel_cudaERNS_18TensorIteratorBaseEENKUlvE_clEvENKUlvE_clEvENKUldE_clEd.has_indirect_call)
	.section	.AMDGPU.csdata,"",@progbits
; Kernel info:
; codeLenInByte = 35672
; TotalNumSgprs: 70
; NumVgprs: 45
; ScratchSize: 0
; MemoryBound: 1
; FloatMode: 240
; IeeeMode: 1
; LDSByteSize: 0 bytes/workgroup (compile time only)
; SGPRBlocks: 8
; VGPRBlocks: 11
; NumSGPRsForWavesPerEU: 70
; NumVGPRsForWavesPerEU: 45
; Occupancy: 5
; WaveLimiterHint : 0
; COMPUTE_PGM_RSRC2:SCRATCH_EN: 0
; COMPUTE_PGM_RSRC2:USER_SGPR: 6
; COMPUTE_PGM_RSRC2:TRAP_HANDLER: 0
; COMPUTE_PGM_RSRC2:TGID_X_EN: 1
; COMPUTE_PGM_RSRC2:TGID_Y_EN: 0
; COMPUTE_PGM_RSRC2:TGID_Z_EN: 0
; COMPUTE_PGM_RSRC2:TIDIG_COMP_CNT: 0
	.section	.text._ZN2at6native32elementwise_kernel_manual_unrollILi128ELi4EZNS0_15gpu_kernel_implIZZZNS0_12_GLOBAL__N_121bessel_j1_kernel_cudaERNS_18TensorIteratorBaseEENKUlvE_clEvENKUlvE_clEvEUldE_EEvS5_RKT_EUlibE0_EEviT1_,"axG",@progbits,_ZN2at6native32elementwise_kernel_manual_unrollILi128ELi4EZNS0_15gpu_kernel_implIZZZNS0_12_GLOBAL__N_121bessel_j1_kernel_cudaERNS_18TensorIteratorBaseEENKUlvE_clEvENKUlvE_clEvEUldE_EEvS5_RKT_EUlibE0_EEviT1_,comdat
	.globl	_ZN2at6native32elementwise_kernel_manual_unrollILi128ELi4EZNS0_15gpu_kernel_implIZZZNS0_12_GLOBAL__N_121bessel_j1_kernel_cudaERNS_18TensorIteratorBaseEENKUlvE_clEvENKUlvE_clEvEUldE_EEvS5_RKT_EUlibE0_EEviT1_ ; -- Begin function _ZN2at6native32elementwise_kernel_manual_unrollILi128ELi4EZNS0_15gpu_kernel_implIZZZNS0_12_GLOBAL__N_121bessel_j1_kernel_cudaERNS_18TensorIteratorBaseEENKUlvE_clEvENKUlvE_clEvEUldE_EEvS5_RKT_EUlibE0_EEviT1_
	.p2align	8
	.type	_ZN2at6native32elementwise_kernel_manual_unrollILi128ELi4EZNS0_15gpu_kernel_implIZZZNS0_12_GLOBAL__N_121bessel_j1_kernel_cudaERNS_18TensorIteratorBaseEENKUlvE_clEvENKUlvE_clEvEUldE_EEvS5_RKT_EUlibE0_EEviT1_,@function
_ZN2at6native32elementwise_kernel_manual_unrollILi128ELi4EZNS0_15gpu_kernel_implIZZZNS0_12_GLOBAL__N_121bessel_j1_kernel_cudaERNS_18TensorIteratorBaseEENKUlvE_clEvENKUlvE_clEvEUldE_EEvS5_RKT_EUlibE0_EEviT1_: ; @_ZN2at6native32elementwise_kernel_manual_unrollILi128ELi4EZNS0_15gpu_kernel_implIZZZNS0_12_GLOBAL__N_121bessel_j1_kernel_cudaERNS_18TensorIteratorBaseEENKUlvE_clEvENKUlvE_clEvEUldE_EEvS5_RKT_EUlibE0_EEviT1_
; %bb.0:
	s_load_dword s87, s[4:5], 0x0
	s_load_dword s33, s[4:5], 0x8
	s_add_u32 s0, s0, s7
	s_addc_u32 s1, s1, 0
	s_mov_b64 s[34:35], s[4:5]
	s_add_u32 s52, s34, 8
	s_addc_u32 s53, s35, 0
	v_lshl_or_b32 v40, s6, 9, v0
	s_waitcnt lgkmcnt(0)
	s_add_i32 s84, s33, -1
	v_or_b32_e32 v8, 0x180, v40
	s_cmp_gt_u32 s84, 1
	v_cmp_le_i32_e32 vcc, s87, v8
	s_cselect_b64 s[56:57], -1, 0
	s_mov_b64 s[54:55], 0
	s_mov_b64 s[44:45], 0
	s_mov_b32 s32, 0
	s_and_saveexec_b64 s[4:5], vcc
	s_xor_b64 s[58:59], exec, s[4:5]
	s_cbranch_execz .LBB8_1086
; %bb.1:
	v_mov_b32_e32 v0, 0
	global_load_ushort v0, v0, s[52:53] offset:345
	s_load_dwordx4 s[48:51], s[52:53], 0x4
	s_load_dwordx2 s[60:61], s[52:53], 0x14
	s_load_dwordx4 s[44:47], s[52:53], 0xc4
	s_load_dwordx4 s[36:39], s[52:53], 0x148
	s_cmp_lg_u32 s33, 0
	s_cselect_b64 s[66:67], -1, 0
	s_add_u32 s64, s52, 0xc4
	s_addc_u32 s65, s53, 0
	s_min_u32 s88, s84, 15
	s_cmp_gt_u32 s33, 1
	s_cselect_b64 s[62:63], -1, 0
	v_cmp_gt_i32_e32 vcc, s87, v40
	s_mov_b64 s[6:7], -1
	s_mov_b64 s[76:77], 0
	s_mov_b64 s[70:71], 0
	;; [unrolled: 1-line block ×3, first 2 shown]
	s_waitcnt vmcnt(0)
	v_readfirstlane_b32 s85, v0
	s_and_b32 s4, 0xffff, s85
	s_lshr_b32 s86, s4, 8
	s_and_saveexec_b64 s[72:73], vcc
	s_cbranch_execz .LBB8_266
; %bb.2:
	s_andn2_b64 vcc, exec, s[56:57]
	s_cbranch_vccnz .LBB8_7
; %bb.3:
	s_andn2_b64 vcc, exec, s[66:67]
	s_cbranch_vccnz .LBB8_8
; %bb.4:
	s_add_i32 s29, s88, 1
	s_cmp_eq_u32 s84, 2
	s_cbranch_scc1 .LBB8_9
; %bb.5:
	s_and_b32 s28, s29, 28
	v_mov_b32_e32 v0, 0
	s_mov_b32 s30, 0
	s_mov_b64 s[24:25], s[52:53]
	s_mov_b64 s[26:27], s[64:65]
	v_mov_b32_e32 v38, 0
	v_mov_b32_e32 v1, v40
.LBB8_6:                                ; =>This Inner Loop Header: Depth=1
	s_load_dwordx8 s[12:19], s[24:25], 0x4
	s_load_dwordx4 s[20:23], s[24:25], 0x24
	s_load_dwordx8 s[4:11], s[26:27], 0x0
	s_add_u32 s24, s24, 48
	s_addc_u32 s25, s25, 0
	s_waitcnt lgkmcnt(0)
	v_mul_hi_u32 v2, s13, v1
	s_add_i32 s30, s30, 4
	s_add_u32 s26, s26, 32
	s_addc_u32 s27, s27, 0
	v_add_u32_e32 v2, v1, v2
	v_lshrrev_b32_e32 v2, s14, v2
	v_mul_lo_u32 v3, v2, s12
	v_mul_hi_u32 v4, s16, v2
	s_cmp_lg_u32 s28, s30
	v_sub_u32_e32 v1, v1, v3
	v_add_u32_e32 v3, v2, v4
	v_mul_lo_u32 v4, v1, s4
	v_mul_lo_u32 v5, v1, s5
	v_lshrrev_b32_e32 v1, s17, v3
	v_mul_lo_u32 v3, v1, s15
	v_mul_hi_u32 v6, s19, v1
	v_sub_u32_e32 v2, v2, v3
	v_add_u32_e32 v3, v1, v6
	v_lshrrev_b32_e32 v3, s20, v3
	v_mul_hi_u32 v7, s22, v3
	v_mul_lo_u32 v8, v3, s18
	v_mul_lo_u32 v6, v2, s6
	;; [unrolled: 1-line block ×3, first 2 shown]
	v_sub_u32_e32 v8, v1, v8
	v_add_u32_e32 v1, v3, v7
	v_lshrrev_b32_e32 v1, s23, v1
	v_mul_lo_u32 v7, v1, s21
	v_mul_lo_u32 v9, v8, s8
	;; [unrolled: 1-line block ×3, first 2 shown]
	v_add3_u32 v4, v4, v38, v6
	v_sub_u32_e32 v3, v3, v7
	v_mul_lo_u32 v7, v3, s10
	v_mul_lo_u32 v3, v3, s11
	v_add3_u32 v0, v5, v0, v2
	v_add3_u32 v38, v9, v4, v7
	;; [unrolled: 1-line block ×3, first 2 shown]
	s_cbranch_scc1 .LBB8_6
	s_branch .LBB8_10
.LBB8_7:
                                        ; implicit-def: $vgpr38
                                        ; implicit-def: $vgpr0
	s_branch .LBB8_14
.LBB8_8:
	v_mov_b32_e32 v38, 0
	v_mov_b32_e32 v0, 0
	s_branch .LBB8_13
.LBB8_9:
	s_mov_b32 s28, 0
	v_mov_b32_e32 v38, 0
	v_mov_b32_e32 v0, 0
	;; [unrolled: 1-line block ×3, first 2 shown]
.LBB8_10:
	s_and_b32 s8, s29, 3
	s_cmp_eq_u32 s8, 0
	s_cbranch_scc1 .LBB8_13
; %bb.11:
	s_lshl_b32 s4, s28, 3
	s_add_u32 s4, s52, s4
	s_addc_u32 s5, s53, 0
	s_add_u32 s4, s4, 0xc4
	s_addc_u32 s5, s5, 0
	s_mul_i32 s6, s28, 12
	s_add_u32 s6, s52, s6
	s_addc_u32 s7, s53, 0
.LBB8_12:                               ; =>This Inner Loop Header: Depth=1
	s_load_dwordx2 s[10:11], s[6:7], 0x4
	s_load_dword s9, s[6:7], 0xc
	s_load_dwordx2 s[12:13], s[4:5], 0x0
	s_add_u32 s6, s6, 12
	s_addc_u32 s7, s7, 0
	s_waitcnt lgkmcnt(0)
	v_mul_hi_u32 v2, s11, v1
	s_add_u32 s4, s4, 8
	s_addc_u32 s5, s5, 0
	s_add_i32 s8, s8, -1
	v_add_u32_e32 v2, v1, v2
	v_lshrrev_b32_e32 v2, s9, v2
	v_mul_lo_u32 v3, v2, s10
	s_cmp_lg_u32 s8, 0
	v_sub_u32_e32 v1, v1, v3
	v_mad_u64_u32 v[38:39], s[10:11], v1, s12, v[38:39]
	v_mad_u64_u32 v[0:1], s[10:11], v1, s13, v[0:1]
	v_mov_b32_e32 v1, v2
	s_cbranch_scc1 .LBB8_12
.LBB8_13:
	s_cbranch_execnz .LBB8_16
.LBB8_14:
	s_waitcnt lgkmcnt(0)
	v_mul_hi_u32 v0, s49, v40
	s_andn2_b64 vcc, exec, s[62:63]
	v_add_u32_e32 v0, v40, v0
	v_lshrrev_b32_e32 v1, s50, v0
	v_mul_lo_u32 v0, v1, s48
	v_sub_u32_e32 v0, v40, v0
	v_mul_lo_u32 v38, v0, s44
	v_mul_lo_u32 v0, v0, s45
	s_cbranch_vccnz .LBB8_16
; %bb.15:
	v_mul_hi_u32 v2, s60, v1
	v_add_u32_e32 v2, v1, v2
	v_lshrrev_b32_e32 v2, s61, v2
	v_mul_lo_u32 v2, v2, s51
	v_sub_u32_e32 v1, v1, v2
	v_mad_u64_u32 v[38:39], s[4:5], v1, s46, v[38:39]
	v_mad_u64_u32 v[0:1], s[4:5], v1, s47, v[0:1]
.LBB8_16:
	s_waitcnt lgkmcnt(0)
	v_mov_b32_e32 v1, s39
	s_and_b32 s10, 0xffff, s86
	v_add_co_u32_e32 v2, vcc, s38, v0
	s_cmp_lt_i32 s10, 11
	v_addc_co_u32_e32 v3, vcc, 0, v1, vcc
	s_cbranch_scc1 .LBB8_23
; %bb.17:
	s_cmp_gt_i32 s10, 25
	s_cbranch_scc0 .LBB8_32
; %bb.18:
	s_cmp_gt_i32 s10, 28
	s_cbranch_scc0 .LBB8_35
	;; [unrolled: 3-line block ×4, first 2 shown]
; %bb.21:
	s_cmp_eq_u32 s10, 46
	s_mov_b64 s[6:7], 0
	s_cbranch_scc0 .LBB8_41
; %bb.22:
	global_load_dword v0, v[2:3], off
	s_mov_b64 s[4:5], -1
	s_mov_b64 s[70:71], 0
	s_waitcnt vmcnt(0)
	v_lshlrev_b32_e32 v0, 16, v0
	v_cvt_f64_f32_e32 v[0:1], v0
	s_branch .LBB8_43
.LBB8_23:
	s_mov_b64 s[70:71], 0
                                        ; implicit-def: $vgpr0_vgpr1
	s_mov_b64 s[4:5], 0
	s_cbranch_execnz .LBB8_216
.LBB8_24:
	s_andn2_b64 vcc, exec, s[4:5]
	s_cbranch_vccnz .LBB8_263
.LBB8_25:
	s_getpc_b64 s[4:5]
	s_add_u32 s4, s4, _ZZZZN2at6native12_GLOBAL__N_121bessel_j1_kernel_cudaERNS_18TensorIteratorBaseEENKUlvE_clEvENKUlvE_clEvENKUldE_clEd@rel32@lo+4
	s_addc_u32 s5, s5, _ZZZZN2at6native12_GLOBAL__N_121bessel_j1_kernel_cudaERNS_18TensorIteratorBaseEENKUlvE_clEvENKUlvE_clEvENKUldE_clEd@rel32@hi+12
	s_swappc_b64 s[30:31], s[4:5]
	v_mov_b32_e32 v2, s37
	s_and_b32 s12, s85, 0xff
	v_add_co_u32_e32 v4, vcc, s36, v38
	s_cmp_lt_i32 s12, 11
	v_addc_co_u32_e32 v5, vcc, 0, v2, vcc
	s_cbranch_scc1 .LBB8_33
; %bb.26:
	s_and_b32 s13, 0xffff, s12
	s_cmp_gt_i32 s13, 25
	s_cbranch_scc0 .LBB8_36
; %bb.27:
	s_cmp_gt_i32 s13, 28
	s_cbranch_scc0 .LBB8_38
; %bb.28:
	;; [unrolled: 3-line block ×4, first 2 shown]
	s_mov_b64 s[8:9], 0
	s_mov_b64 s[4:5], -1
	s_cmp_eq_u32 s13, 46
	s_mov_b64 s[6:7], 0
	s_cbranch_scc0 .LBB8_47
; %bb.31:
	v_cvt_f32_f64_e32 v2, v[0:1]
	s_movk_i32 s4, 0x7fff
	v_mov_b32_e32 v3, 0x7fc0
	s_mov_b64 s[6:7], -1
	v_bfe_u32 v6, v2, 16, 1
	v_cmp_o_f32_e32 vcc, v2, v2
	v_add3_u32 v2, v2, v6, s4
	v_cndmask_b32_sdwa v2, v3, v2, vcc dst_sel:DWORD dst_unused:UNUSED_PAD src0_sel:DWORD src1_sel:WORD_1
	global_store_dword v[4:5], v2, off
	s_mov_b64 s[4:5], 0
	s_branch .LBB8_47
.LBB8_32:
	s_mov_b64 s[70:71], 0
	s_mov_b64 s[4:5], 0
                                        ; implicit-def: $vgpr0_vgpr1
	s_cbranch_execnz .LBB8_183
	s_branch .LBB8_215
.LBB8_33:
	s_mov_b64 s[4:5], 0
	s_mov_b64 s[6:7], 0
	s_cbranch_execnz .LBB8_116
.LBB8_34:
	s_andn2_b64 vcc, exec, s[6:7]
	s_cbranch_vccnz .LBB8_264
	s_branch .LBB8_154
.LBB8_35:
	s_mov_b64 s[6:7], -1
	s_mov_b64 s[70:71], 0
	s_mov_b64 s[4:5], 0
                                        ; implicit-def: $vgpr0_vgpr1
	s_branch .LBB8_162
.LBB8_36:
	s_mov_b64 s[8:9], -1
	s_mov_b64 s[4:5], 0
	s_mov_b64 s[6:7], 0
	s_branch .LBB8_74
.LBB8_37:
	s_mov_b64 s[6:7], -1
	s_mov_b64 s[70:71], 0
	s_mov_b64 s[4:5], 0
                                        ; implicit-def: $vgpr0_vgpr1
	s_branch .LBB8_157
.LBB8_38:
	s_mov_b64 s[8:9], -1
	s_mov_b64 s[4:5], 0
	s_mov_b64 s[6:7], 0
	s_branch .LBB8_57
.LBB8_39:
	s_mov_b64 s[6:7], -1
	s_mov_b64 s[70:71], 0
	s_branch .LBB8_42
.LBB8_40:
	s_mov_b64 s[8:9], -1
	s_mov_b64 s[4:5], 0
	s_mov_b64 s[6:7], 0
	s_branch .LBB8_53
.LBB8_41:
	s_mov_b64 s[70:71], -1
.LBB8_42:
	s_mov_b64 s[4:5], 0
                                        ; implicit-def: $vgpr0_vgpr1
.LBB8_43:
	s_and_b64 vcc, exec, s[6:7]
	s_cbranch_vccz .LBB8_156
; %bb.44:
	s_cmp_eq_u32 s10, 44
	s_cbranch_scc0 .LBB8_155
; %bb.45:
	global_load_ubyte v4, v[2:3], off
	s_movk_i32 s6, 0xff
	v_bfrev_b32_e32 v5, 4
	v_mov_b32_e32 v6, 0x7ff80000
	v_bfrev_b32_e32 v7, 28
	s_mov_b64 s[4:5], -1
	s_mov_b64 s[70:71], 0
	s_waitcnt vmcnt(0)
	v_lshlrev_b32_e32 v0, 23, v4
	v_cvt_f64_f32_e32 v[0:1], v0
	v_cmp_ne_u32_e32 vcc, s6, v4
	v_cndmask_b32_e32 v0, v5, v0, vcc
	v_cndmask_b32_e32 v1, v6, v1, vcc
	v_cmp_ne_u32_e32 vcc, 0, v4
	v_cndmask_b32_e32 v1, v7, v1, vcc
	v_cndmask_b32_e32 v0, 0, v0, vcc
	s_branch .LBB8_156
.LBB8_46:
	s_mov_b64 s[8:9], -1
	s_mov_b64 s[4:5], 0
	s_mov_b64 s[6:7], 0
.LBB8_47:
	s_and_b64 vcc, exec, s[8:9]
	s_cbranch_vccz .LBB8_52
; %bb.48:
	s_cmp_eq_u32 s13, 44
	s_mov_b64 s[4:5], -1
	s_cbranch_scc0 .LBB8_52
; %bb.49:
	v_cvt_f32_f64_e32 v2, v[0:1]
	s_movk_i32 s4, 0xff
	v_mov_b32_e32 v6, 0xff
	v_bfe_u32 v3, v2, 23, 8
	v_cmp_ne_u32_e32 vcc, s4, v3
	s_and_saveexec_b64 s[6:7], vcc
; %bb.50:
	s_mov_b32 s4, 0x3fffff
	v_lshrrev_b32_e32 v6, 23, v2
	v_and_b32_e32 v7, 0x400000, v2
	v_and_or_b32 v2, v2, s4, v3
	v_cmp_ne_u32_e32 vcc, 0, v7
	v_cmp_ne_u32_e64 s[4:5], 0, v2
	s_and_b64 s[4:5], vcc, s[4:5]
	v_cndmask_b32_e64 v2, 0, 1, s[4:5]
	v_add_u32_e32 v6, v6, v2
; %bb.51:
	s_or_b64 exec, exec, s[6:7]
	s_mov_b64 s[6:7], -1
	s_mov_b64 s[4:5], 0
	global_store_byte v[4:5], v6, off
.LBB8_52:
	s_mov_b64 s[8:9], 0
.LBB8_53:
	s_and_b64 vcc, exec, s[8:9]
	s_cbranch_vccz .LBB8_56
; %bb.54:
	s_cmp_eq_u32 s13, 29
	s_mov_b64 s[4:5], -1
	s_cbranch_scc0 .LBB8_56
; %bb.55:
	v_trunc_f64_e32 v[2:3], v[0:1]
	s_movk_i32 s4, 0xffe0
	s_mov_b64 s[6:7], -1
	s_mov_b64 s[8:9], 0
	v_ldexp_f64 v[6:7], v[2:3], s4
	s_mov_b32 s4, 0
	s_mov_b32 s5, 0xc1f00000
	v_floor_f64_e32 v[6:7], v[6:7]
	v_fma_f64 v[2:3], v[6:7], s[4:5], v[2:3]
	v_cvt_u32_f64_e32 v7, v[6:7]
	s_mov_b64 s[4:5], 0
	v_cvt_u32_f64_e32 v6, v[2:3]
	global_store_dwordx2 v[4:5], v[6:7], off
	s_branch .LBB8_57
.LBB8_56:
	s_mov_b64 s[8:9], 0
.LBB8_57:
	s_and_b64 vcc, exec, s[8:9]
	s_cbranch_vccz .LBB8_73
; %bb.58:
	s_cmp_lt_i32 s13, 27
	s_mov_b64 s[6:7], -1
	s_cbranch_scc1 .LBB8_64
; %bb.59:
	v_cvt_u32_f64_e32 v2, v[0:1]
	s_cmp_gt_i32 s13, 27
	s_cbranch_scc0 .LBB8_61
; %bb.60:
	s_mov_b64 s[6:7], 0
	global_store_dword v[4:5], v2, off
.LBB8_61:
	s_andn2_b64 vcc, exec, s[6:7]
	s_cbranch_vccnz .LBB8_63
; %bb.62:
	global_store_short v[4:5], v2, off
.LBB8_63:
	s_mov_b64 s[6:7], 0
.LBB8_64:
	s_andn2_b64 vcc, exec, s[6:7]
	s_cbranch_vccnz .LBB8_72
; %bb.65:
	v_cvt_f32_f64_e32 v2, v[0:1]
	s_mov_b32 s6, 0x43800000
	v_mov_b32_e32 v6, 0x80
	v_and_b32_e32 v3, 0x7fffffff, v2
	v_cmp_gt_u32_e32 vcc, s6, v3
	s_and_saveexec_b64 s[6:7], vcc
	s_cbranch_execz .LBB8_71
; %bb.66:
	s_mov_b32 s8, 0x3bffffff
	v_cmp_lt_u32_e32 vcc, s8, v3
	s_mov_b64 s[8:9], 0
                                        ; implicit-def: $vgpr3
	s_and_saveexec_b64 s[10:11], vcc
	s_xor_b64 s[10:11], exec, s[10:11]
	s_cbranch_execz .LBB8_307
; %bb.67:
	v_bfe_u32 v3, v2, 20, 1
	s_mov_b32 s14, 0x487ffff
	v_add3_u32 v3, v2, v3, s14
	s_mov_b64 s[8:9], exec
	v_lshrrev_b32_e32 v3, 20, v3
	s_andn2_saveexec_b64 s[10:11], s[10:11]
	s_cbranch_execnz .LBB8_308
.LBB8_68:
	s_or_b64 exec, exec, s[10:11]
	v_mov_b32_e32 v6, 0
	s_and_saveexec_b64 s[10:11], s[8:9]
.LBB8_69:
	v_lshrrev_b32_e32 v2, 24, v2
	s_movk_i32 s8, 0x80
	v_and_or_b32 v6, v2, s8, v3
.LBB8_70:
	s_or_b64 exec, exec, s[10:11]
.LBB8_71:
	s_or_b64 exec, exec, s[6:7]
	global_store_byte v[4:5], v6, off
.LBB8_72:
	s_mov_b64 s[6:7], -1
.LBB8_73:
	s_mov_b64 s[8:9], 0
.LBB8_74:
	s_and_b64 vcc, exec, s[8:9]
	s_cbranch_vccz .LBB8_115
; %bb.75:
	s_cmp_gt_i32 s13, 22
	s_mov_b64 s[8:9], -1
	s_cbranch_scc0 .LBB8_107
; %bb.76:
	s_cmp_lt_i32 s13, 24
	s_mov_b64 s[6:7], -1
	s_cbranch_scc1 .LBB8_96
; %bb.77:
	s_cmp_gt_i32 s13, 24
	s_cbranch_scc0 .LBB8_85
; %bb.78:
	v_cvt_f32_f64_e32 v2, v[0:1]
	s_mov_b32 s6, 0x47800000
	v_mov_b32_e32 v6, 0x80
	v_and_b32_e32 v3, 0x7fffffff, v2
	v_cmp_gt_u32_e32 vcc, s6, v3
	s_and_saveexec_b64 s[6:7], vcc
	s_cbranch_execz .LBB8_84
; %bb.79:
	s_mov_b32 s8, 0x37ffffff
	v_cmp_lt_u32_e32 vcc, s8, v3
	s_mov_b64 s[8:9], 0
                                        ; implicit-def: $vgpr3
	s_and_saveexec_b64 s[10:11], vcc
	s_xor_b64 s[10:11], exec, s[10:11]
	s_cbranch_execz .LBB8_311
; %bb.80:
	v_bfe_u32 v3, v2, 21, 1
	s_mov_b32 s14, 0x88fffff
	v_add3_u32 v3, v2, v3, s14
	s_mov_b64 s[8:9], exec
	v_lshrrev_b32_e32 v3, 21, v3
	s_andn2_saveexec_b64 s[10:11], s[10:11]
	s_cbranch_execnz .LBB8_312
.LBB8_81:
	s_or_b64 exec, exec, s[10:11]
	v_mov_b32_e32 v6, 0
	s_and_saveexec_b64 s[10:11], s[8:9]
.LBB8_82:
	v_lshrrev_b32_e32 v2, 24, v2
	s_movk_i32 s8, 0x80
	v_and_or_b32 v6, v2, s8, v3
.LBB8_83:
	s_or_b64 exec, exec, s[10:11]
.LBB8_84:
	s_or_b64 exec, exec, s[6:7]
	s_mov_b64 s[6:7], 0
	global_store_byte v[4:5], v6, off
.LBB8_85:
	s_and_b64 vcc, exec, s[6:7]
	s_cbranch_vccz .LBB8_95
; %bb.86:
	v_cvt_f32_f64_e32 v2, v[0:1]
	s_mov_b32 s6, 0x43f00000
                                        ; implicit-def: $vgpr3
	v_and_b32_e32 v6, 0x7fffffff, v2
	v_cmp_gt_u32_e32 vcc, s6, v6
	s_and_saveexec_b64 s[6:7], vcc
	s_xor_b64 s[6:7], exec, s[6:7]
	s_cbranch_execz .LBB8_92
; %bb.87:
	s_mov_b32 s8, 0x3c7fffff
	v_cmp_lt_u32_e32 vcc, s8, v6
                                        ; implicit-def: $vgpr3
	s_and_saveexec_b64 s[8:9], vcc
	s_xor_b64 s[8:9], exec, s[8:9]
; %bb.88:
	v_bfe_u32 v3, v2, 20, 1
	s_mov_b32 s10, 0x407ffff
	v_add3_u32 v3, v2, v3, s10
	v_lshrrev_b32_e32 v6, 20, v3
	v_and_b32_e32 v3, 0xff00000, v3
	s_mov_b32 s10, 0x7f00000
	v_mov_b32_e32 v7, 0x7e
	v_cmp_ne_u32_e32 vcc, s10, v3
	v_cndmask_b32_e32 v3, v7, v6, vcc
; %bb.89:
	s_andn2_saveexec_b64 s[8:9], s[8:9]
; %bb.90:
	s_mov_b32 s10, 0x46800000
	v_add_f32_e64 v3, |v2|, s10
; %bb.91:
	s_or_b64 exec, exec, s[8:9]
                                        ; implicit-def: $vgpr6
.LBB8_92:
	s_andn2_saveexec_b64 s[6:7], s[6:7]
; %bb.93:
	s_mov_b32 s8, 0x7f800000
	v_mov_b32_e32 v3, 0x7e
	v_mov_b32_e32 v7, 0x7f
	v_cmp_lt_u32_e32 vcc, s8, v6
	v_cndmask_b32_e32 v3, v3, v7, vcc
; %bb.94:
	s_or_b64 exec, exec, s[6:7]
	v_lshrrev_b32_e32 v2, 24, v2
	s_movk_i32 s6, 0x80
	v_and_or_b32 v2, v2, s6, v3
	global_store_byte v[4:5], v2, off
.LBB8_95:
	s_mov_b64 s[6:7], 0
.LBB8_96:
	s_andn2_b64 vcc, exec, s[6:7]
	s_cbranch_vccnz .LBB8_106
; %bb.97:
	v_cvt_f32_f64_e32 v2, v[0:1]
	s_mov_b32 s6, 0x47800000
                                        ; implicit-def: $vgpr3
	v_and_b32_e32 v6, 0x7fffffff, v2
	v_cmp_gt_u32_e32 vcc, s6, v6
	s_and_saveexec_b64 s[6:7], vcc
	s_xor_b64 s[6:7], exec, s[6:7]
	s_cbranch_execz .LBB8_103
; %bb.98:
	s_mov_b32 s8, 0x387fffff
	v_cmp_lt_u32_e32 vcc, s8, v6
                                        ; implicit-def: $vgpr3
	s_and_saveexec_b64 s[8:9], vcc
	s_xor_b64 s[8:9], exec, s[8:9]
; %bb.99:
	v_bfe_u32 v3, v2, 21, 1
	s_mov_b32 s10, 0x80fffff
	v_add3_u32 v3, v2, v3, s10
	v_lshrrev_b32_e32 v3, 21, v3
; %bb.100:
	s_andn2_saveexec_b64 s[8:9], s[8:9]
; %bb.101:
	s_mov_b32 s10, 0x43000000
	v_add_f32_e64 v3, |v2|, s10
; %bb.102:
	s_or_b64 exec, exec, s[8:9]
                                        ; implicit-def: $vgpr6
.LBB8_103:
	s_andn2_saveexec_b64 s[6:7], s[6:7]
; %bb.104:
	s_mov_b32 s8, 0x7f800000
	v_mov_b32_e32 v3, 0x7c
	v_mov_b32_e32 v7, 0x7f
	v_cmp_lt_u32_e32 vcc, s8, v6
	v_cndmask_b32_e32 v3, v3, v7, vcc
; %bb.105:
	s_or_b64 exec, exec, s[6:7]
	v_lshrrev_b32_e32 v2, 24, v2
	s_movk_i32 s6, 0x80
	v_and_or_b32 v2, v2, s6, v3
	global_store_byte v[4:5], v2, off
.LBB8_106:
	s_mov_b64 s[8:9], 0
	s_mov_b64 s[6:7], -1
.LBB8_107:
	s_andn2_b64 vcc, exec, s[8:9]
	s_cbranch_vccnz .LBB8_115
; %bb.108:
	s_cmp_gt_i32 s13, 14
	s_mov_b64 s[8:9], -1
	s_cbranch_scc0 .LBB8_112
; %bb.109:
	s_cmp_eq_u32 s13, 15
	s_mov_b64 s[4:5], -1
	s_cbranch_scc0 .LBB8_111
; %bb.110:
	v_cvt_f32_f64_e32 v2, v[0:1]
	s_movk_i32 s4, 0x7fff
	v_mov_b32_e32 v3, 0x7fc0
	s_mov_b64 s[6:7], -1
	v_bfe_u32 v6, v2, 16, 1
	v_cmp_o_f32_e32 vcc, v2, v2
	v_add3_u32 v2, v2, v6, s4
	v_cndmask_b32_sdwa v2, v3, v2, vcc dst_sel:DWORD dst_unused:UNUSED_PAD src0_sel:DWORD src1_sel:WORD_1
	global_store_short v[4:5], v2, off
	s_mov_b64 s[4:5], 0
.LBB8_111:
	s_mov_b64 s[8:9], 0
.LBB8_112:
	s_and_b64 vcc, exec, s[8:9]
	s_cbranch_vccz .LBB8_115
; %bb.113:
	s_cmp_eq_u32 s13, 11
	s_mov_b64 s[4:5], -1
	s_cbranch_scc0 .LBB8_115
; %bb.114:
	v_cmp_neq_f64_e32 vcc, 0, v[0:1]
	s_mov_b64 s[4:5], 0
	s_mov_b64 s[6:7], -1
	v_cndmask_b32_e64 v2, 0, 1, vcc
	global_store_byte v[4:5], v2, off
.LBB8_115:
	s_branch .LBB8_34
.LBB8_116:
	s_and_b32 s8, 0xffff, s12
	s_cmp_lt_i32 s8, 5
	s_mov_b64 s[6:7], -1
	s_cbranch_scc1 .LBB8_137
; %bb.117:
	s_cmp_lt_i32 s8, 8
	s_cbranch_scc1 .LBB8_127
; %bb.118:
	s_cmp_lt_i32 s8, 9
	s_cbranch_scc1 .LBB8_124
; %bb.119:
	s_cmp_gt_i32 s8, 9
	s_cbranch_scc0 .LBB8_121
; %bb.120:
	v_mov_b32_e32 v2, 0
	v_mov_b32_e32 v3, v2
	global_store_dwordx4 v[4:5], v[0:3], off
	s_mov_b64 s[6:7], 0
.LBB8_121:
	s_andn2_b64 vcc, exec, s[6:7]
	s_cbranch_vccnz .LBB8_123
; %bb.122:
	v_cvt_f32_f64_e32 v2, v[0:1]
	v_mov_b32_e32 v3, 0
	global_store_dwordx2 v[4:5], v[2:3], off
.LBB8_123:
	s_mov_b64 s[6:7], 0
.LBB8_124:
	s_andn2_b64 vcc, exec, s[6:7]
	s_cbranch_vccnz .LBB8_126
; %bb.125:
	s_movk_i32 s6, 0x1ff
	v_and_or_b32 v2, v1, s6, v0
	v_cmp_ne_u32_e32 vcc, 0, v2
	v_cndmask_b32_e64 v2, 0, 1, vcc
	v_lshrrev_b32_e32 v3, 8, v1
	s_movk_i32 s6, 0xffe
	v_bfe_u32 v6, v1, 20, 11
	v_and_or_b32 v2, v3, s6, v2
	v_sub_u32_e32 v7, 0x3f1, v6
	v_or_b32_e32 v3, 0x1000, v2
	v_med3_i32 v7, v7, 0, 13
	v_lshrrev_b32_e32 v8, v7, v3
	v_lshlrev_b32_e32 v7, v7, v8
	v_cmp_ne_u32_e32 vcc, v7, v3
	v_cndmask_b32_e64 v3, 0, 1, vcc
	v_add_u32_e32 v6, 0xfffffc10, v6
	v_or_b32_e32 v3, v8, v3
	v_lshl_or_b32 v7, v6, 12, v2
	v_cmp_gt_i32_e32 vcc, 1, v6
	v_cndmask_b32_e32 v3, v7, v3, vcc
	v_and_b32_e32 v7, 7, v3
	v_cmp_lt_i32_e32 vcc, 5, v7
	v_cndmask_b32_e64 v8, 0, 1, vcc
	v_cmp_eq_u32_e32 vcc, 3, v7
	v_cndmask_b32_e64 v7, 0, 1, vcc
	v_or_b32_e32 v7, v7, v8
	v_lshrrev_b32_e32 v3, 2, v3
	v_add_u32_e32 v3, v3, v7
	v_mov_b32_e32 v7, 0x7c00
	v_cmp_gt_i32_e32 vcc, 31, v6
	v_cndmask_b32_e32 v3, v7, v3, vcc
	v_mov_b32_e32 v8, 0x7e00
	v_cmp_ne_u32_e32 vcc, 0, v2
	s_movk_i32 s6, 0x40f
	v_cndmask_b32_e32 v2, v7, v8, vcc
	v_cmp_eq_u32_e32 vcc, s6, v6
	v_cndmask_b32_e32 v2, v3, v2, vcc
	v_lshrrev_b32_e32 v3, 16, v1
	s_mov_b32 s6, 0x8000
	v_and_or_b32 v2, v3, s6, v2
	v_and_b32_e32 v2, 0xffff, v2
	global_store_dword v[4:5], v2, off
.LBB8_126:
	s_mov_b64 s[6:7], 0
.LBB8_127:
	s_andn2_b64 vcc, exec, s[6:7]
	s_cbranch_vccnz .LBB8_136
; %bb.128:
	s_cmp_lt_i32 s8, 6
	s_mov_b64 s[6:7], -1
	s_cbranch_scc1 .LBB8_134
; %bb.129:
	s_cmp_gt_i32 s8, 6
	s_cbranch_scc0 .LBB8_131
; %bb.130:
	global_store_dwordx2 v[4:5], v[0:1], off
	s_mov_b64 s[6:7], 0
.LBB8_131:
	s_andn2_b64 vcc, exec, s[6:7]
	s_cbranch_vccnz .LBB8_133
; %bb.132:
	v_cvt_f32_f64_e32 v2, v[0:1]
	global_store_dword v[4:5], v2, off
.LBB8_133:
	s_mov_b64 s[6:7], 0
.LBB8_134:
	s_andn2_b64 vcc, exec, s[6:7]
	s_cbranch_vccnz .LBB8_136
; %bb.135:
	s_movk_i32 s6, 0x1ff
	v_and_or_b32 v2, v1, s6, v0
	v_cmp_ne_u32_e32 vcc, 0, v2
	v_cndmask_b32_e64 v2, 0, 1, vcc
	v_lshrrev_b32_e32 v3, 8, v1
	s_movk_i32 s6, 0xffe
	v_bfe_u32 v6, v1, 20, 11
	v_and_or_b32 v2, v3, s6, v2
	v_sub_u32_e32 v7, 0x3f1, v6
	v_or_b32_e32 v3, 0x1000, v2
	v_med3_i32 v7, v7, 0, 13
	v_lshrrev_b32_e32 v8, v7, v3
	v_lshlrev_b32_e32 v7, v7, v8
	v_cmp_ne_u32_e32 vcc, v7, v3
	v_cndmask_b32_e64 v3, 0, 1, vcc
	v_add_u32_e32 v6, 0xfffffc10, v6
	v_or_b32_e32 v3, v8, v3
	v_lshl_or_b32 v7, v6, 12, v2
	v_cmp_gt_i32_e32 vcc, 1, v6
	v_cndmask_b32_e32 v3, v7, v3, vcc
	v_and_b32_e32 v7, 7, v3
	v_cmp_lt_i32_e32 vcc, 5, v7
	v_cndmask_b32_e64 v8, 0, 1, vcc
	v_cmp_eq_u32_e32 vcc, 3, v7
	v_cndmask_b32_e64 v7, 0, 1, vcc
	v_or_b32_e32 v7, v7, v8
	v_lshrrev_b32_e32 v3, 2, v3
	v_add_u32_e32 v3, v3, v7
	v_mov_b32_e32 v7, 0x7c00
	v_cmp_gt_i32_e32 vcc, 31, v6
	v_cndmask_b32_e32 v3, v7, v3, vcc
	v_mov_b32_e32 v8, 0x7e00
	v_cmp_ne_u32_e32 vcc, 0, v2
	s_movk_i32 s6, 0x40f
	v_cndmask_b32_e32 v2, v7, v8, vcc
	v_cmp_eq_u32_e32 vcc, s6, v6
	v_cndmask_b32_e32 v2, v3, v2, vcc
	v_lshrrev_b32_e32 v3, 16, v1
	s_mov_b32 s6, 0x8000
	v_and_or_b32 v2, v3, s6, v2
	global_store_short v[4:5], v2, off
.LBB8_136:
	s_mov_b64 s[6:7], 0
.LBB8_137:
	s_andn2_b64 vcc, exec, s[6:7]
	s_cbranch_vccnz .LBB8_153
; %bb.138:
	s_cmp_lt_i32 s8, 2
	s_mov_b64 s[6:7], -1
	s_cbranch_scc1 .LBB8_148
; %bb.139:
	s_cmp_lt_i32 s8, 3
	s_cbranch_scc1 .LBB8_145
; %bb.140:
	s_cmp_gt_i32 s8, 3
	s_cbranch_scc0 .LBB8_142
; %bb.141:
	v_trunc_f64_e32 v[2:3], v[0:1]
	s_movk_i32 s6, 0xffe0
	v_ldexp_f64 v[6:7], v[2:3], s6
	s_mov_b32 s6, 0
	s_mov_b32 s7, 0xc1f00000
	v_floor_f64_e32 v[6:7], v[6:7]
	v_fma_f64 v[2:3], v[6:7], s[6:7], v[2:3]
	v_cvt_i32_f64_e32 v7, v[6:7]
	s_mov_b64 s[6:7], 0
	v_cvt_u32_f64_e32 v6, v[2:3]
	global_store_dwordx2 v[4:5], v[6:7], off
.LBB8_142:
	s_andn2_b64 vcc, exec, s[6:7]
	s_cbranch_vccnz .LBB8_144
; %bb.143:
	v_cvt_i32_f64_e32 v2, v[0:1]
	global_store_dword v[4:5], v2, off
.LBB8_144:
	s_mov_b64 s[6:7], 0
.LBB8_145:
	s_andn2_b64 vcc, exec, s[6:7]
	s_cbranch_vccnz .LBB8_147
; %bb.146:
	v_cvt_i32_f64_e32 v2, v[0:1]
	global_store_short v[4:5], v2, off
.LBB8_147:
	s_mov_b64 s[6:7], 0
.LBB8_148:
	s_andn2_b64 vcc, exec, s[6:7]
	s_cbranch_vccnz .LBB8_153
; %bb.149:
	s_cmp_gt_i32 s8, 0
	s_mov_b64 s[6:7], -1
	s_cbranch_scc0 .LBB8_151
; %bb.150:
	v_cvt_i32_f64_e32 v2, v[0:1]
	s_mov_b64 s[6:7], 0
	global_store_byte v[4:5], v2, off
.LBB8_151:
	s_andn2_b64 vcc, exec, s[6:7]
	s_cbranch_vccnz .LBB8_153
; %bb.152:
	v_trunc_f64_e32 v[0:1], v[0:1]
	s_movk_i32 s6, 0xffe0
	v_ldexp_f64 v[2:3], v[0:1], s6
	s_mov_b32 s6, 0
	s_mov_b32 s7, 0xc1f00000
	v_floor_f64_e32 v[2:3], v[2:3]
	v_fma_f64 v[0:1], v[2:3], s[6:7], v[0:1]
	v_cvt_u32_f64_e32 v0, v[0:1]
	global_store_byte v[4:5], v0, off
.LBB8_153:
.LBB8_154:
	v_add_u32_e32 v40, 0x80, v40
	s_mov_b64 s[6:7], -1
	s_branch .LBB8_265
.LBB8_155:
	s_mov_b64 s[70:71], -1
                                        ; implicit-def: $vgpr0_vgpr1
.LBB8_156:
	s_mov_b64 s[6:7], 0
.LBB8_157:
	s_and_b64 vcc, exec, s[6:7]
	s_cbranch_vccz .LBB8_161
; %bb.158:
	s_cmp_eq_u32 s10, 29
	s_cbranch_scc0 .LBB8_160
; %bb.159:
	global_load_dwordx2 v[0:1], v[2:3], off
	s_mov_b64 s[4:5], -1
	s_mov_b64 s[70:71], 0
	s_mov_b64 s[6:7], 0
	s_waitcnt vmcnt(0)
	v_cvt_f64_u32_e32 v[4:5], v1
	v_cvt_f64_u32_e32 v[0:1], v0
	v_ldexp_f64 v[4:5], v[4:5], 32
	v_add_f64 v[0:1], v[4:5], v[0:1]
	s_branch .LBB8_162
.LBB8_160:
	s_mov_b64 s[70:71], -1
                                        ; implicit-def: $vgpr0_vgpr1
.LBB8_161:
	s_mov_b64 s[6:7], 0
.LBB8_162:
	s_and_b64 vcc, exec, s[6:7]
	s_cbranch_vccz .LBB8_182
; %bb.163:
	s_cmp_lt_i32 s10, 27
	s_cbranch_scc1 .LBB8_166
; %bb.164:
	s_cmp_gt_i32 s10, 27
	s_cbranch_scc0 .LBB8_167
; %bb.165:
	global_load_dword v0, v[2:3], off
	s_mov_b64 s[4:5], 0
	s_waitcnt vmcnt(0)
	v_cvt_f64_u32_e32 v[0:1], v0
	s_branch .LBB8_168
.LBB8_166:
	s_mov_b64 s[4:5], -1
                                        ; implicit-def: $vgpr0_vgpr1
	s_branch .LBB8_171
.LBB8_167:
	s_mov_b64 s[4:5], -1
                                        ; implicit-def: $vgpr0_vgpr1
.LBB8_168:
	s_andn2_b64 vcc, exec, s[4:5]
	s_cbranch_vccnz .LBB8_170
; %bb.169:
	global_load_ushort v0, v[2:3], off
	s_waitcnt vmcnt(0)
	v_cvt_f64_u32_e32 v[0:1], v0
.LBB8_170:
	s_mov_b64 s[4:5], 0
.LBB8_171:
	s_andn2_b64 vcc, exec, s[4:5]
	s_cbranch_vccnz .LBB8_181
; %bb.172:
	global_load_ubyte v4, v[2:3], off
	s_movk_i32 s4, 0x7f
	s_waitcnt vmcnt(0)
	v_cmp_lt_i16_e32 vcc, s4, v4
	s_mov_b64 s[4:5], 0
	s_and_saveexec_b64 s[6:7], vcc
	s_xor_b64 s[6:7], exec, s[6:7]
	s_cbranch_execz .LBB8_176
; %bb.173:
	s_movk_i32 s4, 0x80
	v_cmp_eq_u16_e32 vcc, s4, v4
	s_mov_b64 s[4:5], -1
	s_and_saveexec_b64 s[8:9], vcc
; %bb.174:
	s_xor_b64 s[4:5], exec, -1
; %bb.175:
	s_or_b64 exec, exec, s[8:9]
	s_and_b64 s[4:5], s[4:5], exec
.LBB8_176:
	s_or_saveexec_b64 s[6:7], s[6:7]
	v_bfrev_b32_e32 v0, 4
	v_mov_b32_e32 v1, 0x7ff80000
	s_xor_b64 exec, exec, s[6:7]
; %bb.177:
	v_cmp_ne_u16_e32 vcc, 0, v4
	v_mov_b32_e32 v0, 0
	s_andn2_b64 s[4:5], s[4:5], exec
	s_and_b64 s[8:9], vcc, exec
	v_mov_b32_e32 v1, 0
	s_or_b64 s[4:5], s[4:5], s[8:9]
; %bb.178:
	s_or_b64 exec, exec, s[6:7]
	s_and_saveexec_b64 s[6:7], s[4:5]
	s_cbranch_execz .LBB8_180
; %bb.179:
	v_and_b32_e32 v1, 0xffff, v4
	v_lshlrev_b32_e32 v0, 24, v4
	v_and_b32_e32 v4, 7, v1
	v_ffbh_u32_e32 v6, v4
	v_min_u32_e32 v6, 32, v6
	v_subrev_u32_e32 v7, 28, v6
	v_bfe_u32 v5, v1, 3, 4
	v_lshlrev_b32_e32 v1, v7, v1
	v_sub_u32_e32 v6, 29, v6
	v_and_b32_e32 v1, 7, v1
	v_cmp_eq_u32_e32 vcc, 0, v5
	v_cndmask_b32_e32 v5, v5, v6, vcc
	v_cndmask_b32_e32 v1, v4, v1, vcc
	v_mov_b32_e32 v4, 0x3b800000
	v_lshlrev_b32_e32 v1, 20, v1
	v_and_b32_e32 v0, 0x80000000, v0
	v_lshl_add_u32 v4, v5, 23, v4
	v_or3_b32 v0, v0, v4, v1
	v_cvt_f64_f32_e32 v[0:1], v0
.LBB8_180:
	s_or_b64 exec, exec, s[6:7]
.LBB8_181:
	s_mov_b64 s[4:5], -1
.LBB8_182:
	s_branch .LBB8_215
.LBB8_183:
	s_cmp_gt_i32 s10, 22
	s_cbranch_scc0 .LBB8_195
; %bb.184:
	s_cmp_lt_i32 s10, 24
	s_cbranch_scc1 .LBB8_196
; %bb.185:
	s_cmp_gt_i32 s10, 24
	s_cbranch_scc0 .LBB8_197
; %bb.186:
	global_load_ubyte v4, v[2:3], off
	s_movk_i32 s4, 0x7f
	s_waitcnt vmcnt(0)
	v_cmp_lt_i16_e32 vcc, s4, v4
	s_mov_b64 s[4:5], 0
	s_and_saveexec_b64 s[6:7], vcc
	s_xor_b64 s[6:7], exec, s[6:7]
	s_cbranch_execz .LBB8_190
; %bb.187:
	s_movk_i32 s4, 0x80
	v_cmp_eq_u16_e32 vcc, s4, v4
	s_mov_b64 s[4:5], -1
	s_and_saveexec_b64 s[8:9], vcc
; %bb.188:
	s_xor_b64 s[4:5], exec, -1
; %bb.189:
	s_or_b64 exec, exec, s[8:9]
	s_and_b64 s[4:5], s[4:5], exec
.LBB8_190:
	s_or_saveexec_b64 s[6:7], s[6:7]
	v_bfrev_b32_e32 v0, 4
	v_mov_b32_e32 v1, 0x7ff80000
	s_xor_b64 exec, exec, s[6:7]
; %bb.191:
	v_cmp_ne_u16_e32 vcc, 0, v4
	v_mov_b32_e32 v0, 0
	s_andn2_b64 s[4:5], s[4:5], exec
	s_and_b64 s[8:9], vcc, exec
	v_mov_b32_e32 v1, 0
	s_or_b64 s[4:5], s[4:5], s[8:9]
; %bb.192:
	s_or_b64 exec, exec, s[6:7]
	s_and_saveexec_b64 s[6:7], s[4:5]
	s_cbranch_execz .LBB8_194
; %bb.193:
	v_and_b32_e32 v1, 0xffff, v4
	v_lshlrev_b32_e32 v0, 24, v4
	v_and_b32_e32 v4, 3, v1
	v_ffbh_u32_e32 v6, v4
	v_min_u32_e32 v6, 32, v6
	v_subrev_u32_e32 v7, 29, v6
	v_bfe_u32 v5, v1, 2, 5
	v_lshlrev_b32_e32 v1, v7, v1
	v_sub_u32_e32 v6, 30, v6
	v_and_b32_e32 v1, 3, v1
	v_cmp_eq_u32_e32 vcc, 0, v5
	v_cndmask_b32_e32 v5, v5, v6, vcc
	v_cndmask_b32_e32 v1, v4, v1, vcc
	v_mov_b32_e32 v4, 0x37800000
	v_lshlrev_b32_e32 v1, 21, v1
	v_and_b32_e32 v0, 0x80000000, v0
	v_lshl_add_u32 v4, v5, 23, v4
	v_or3_b32 v0, v0, v4, v1
	v_cvt_f64_f32_e32 v[0:1], v0
.LBB8_194:
	s_or_b64 exec, exec, s[6:7]
	s_mov_b64 s[4:5], 0
	s_branch .LBB8_198
.LBB8_195:
	s_mov_b64 s[6:7], -1
                                        ; implicit-def: $vgpr0_vgpr1
	s_branch .LBB8_204
.LBB8_196:
	s_mov_b64 s[4:5], -1
                                        ; implicit-def: $vgpr0_vgpr1
	s_branch .LBB8_201
.LBB8_197:
	s_mov_b64 s[4:5], -1
                                        ; implicit-def: $vgpr0_vgpr1
.LBB8_198:
	s_and_b64 vcc, exec, s[4:5]
	s_cbranch_vccz .LBB8_200
; %bb.199:
	global_load_ubyte v0, v[2:3], off
	s_mov_b32 s4, 0x7f800000
	s_waitcnt vmcnt(0)
	v_lshlrev_b32_e32 v0, 24, v0
	v_and_b32_e32 v1, 0x7f000000, v0
	v_ffbh_u32_e32 v4, v1
	v_min_u32_e32 v4, 32, v4
	v_sub_u32_e64 v4, v4, 4 clamp
	v_lshlrev_b32_e32 v6, v4, v1
	v_lshlrev_b32_e32 v4, 23, v4
	v_lshrrev_b32_e32 v6, 4, v6
	v_add_u32_e32 v5, 0x1000000, v1
	v_sub_u32_e32 v4, v6, v4
	v_ashrrev_i32_e32 v5, 8, v5
	v_add_u32_e32 v4, 0x3c000000, v4
	v_and_or_b32 v4, v5, s4, v4
	v_cmp_ne_u32_e32 vcc, 0, v1
	v_cndmask_b32_e32 v1, 0, v4, vcc
	s_brev_b32 s4, 1
	v_and_or_b32 v0, v0, s4, v1
	v_cvt_f64_f32_e32 v[0:1], v0
.LBB8_200:
	s_mov_b64 s[4:5], 0
.LBB8_201:
	s_andn2_b64 vcc, exec, s[4:5]
	s_cbranch_vccnz .LBB8_203
; %bb.202:
	global_load_ubyte v0, v[2:3], off
	s_movk_i32 s4, 0x7f00
	s_brev_b32 s5, 16
	s_waitcnt vmcnt(0)
	v_lshlrev_b16_e32 v1, 8, v0
	v_lshlrev_b32_e32 v0, 25, v0
	v_lshrrev_b32_e32 v4, 4, v0
	v_and_or_b32 v5, v1, s4, 0.5
	v_or_b32_e32 v4, 0x70000000, v4
	v_add_f32_e32 v5, -0.5, v5
	v_mul_f32_e32 v4, 0x7800000, v4
	v_cmp_gt_u32_e32 vcc, s5, v0
	v_bfe_i32 v1, v1, 0, 16
	v_cndmask_b32_e32 v0, v4, v5, vcc
	s_brev_b32 s4, 1
	v_and_or_b32 v0, v1, s4, v0
	v_cvt_f64_f32_e32 v[0:1], v0
.LBB8_203:
	s_mov_b64 s[6:7], 0
	s_mov_b64 s[4:5], -1
.LBB8_204:
	s_andn2_b64 vcc, exec, s[6:7]
	s_cbranch_vccnz .LBB8_215
; %bb.205:
	s_cmp_gt_i32 s10, 14
	s_cbranch_scc0 .LBB8_208
; %bb.206:
	s_cmp_eq_u32 s10, 15
	s_cbranch_scc0 .LBB8_209
; %bb.207:
	global_load_ushort v0, v[2:3], off
	s_mov_b64 s[4:5], -1
	s_mov_b64 s[70:71], 0
	s_waitcnt vmcnt(0)
	v_lshlrev_b32_e32 v0, 16, v0
	v_cvt_f64_f32_e32 v[0:1], v0
	s_branch .LBB8_210
.LBB8_208:
	s_mov_b64 s[6:7], -1
                                        ; implicit-def: $vgpr0_vgpr1
	s_branch .LBB8_211
.LBB8_209:
	s_mov_b64 s[70:71], -1
                                        ; implicit-def: $vgpr0_vgpr1
.LBB8_210:
	s_mov_b64 s[6:7], 0
.LBB8_211:
	s_and_b64 vcc, exec, s[6:7]
	s_cbranch_vccz .LBB8_215
; %bb.212:
	s_cmp_eq_u32 s10, 11
	s_cbranch_scc0 .LBB8_214
; %bb.213:
	global_load_ubyte v1, v[2:3], off
	v_mov_b32_e32 v4, 0x3ff00000
	v_mov_b32_e32 v0, 0
	s_mov_b64 s[4:5], -1
	s_mov_b64 s[70:71], 0
	s_waitcnt vmcnt(0)
	v_cmp_ne_u16_e32 vcc, 0, v1
	v_cndmask_b32_e32 v1, 0, v4, vcc
	s_branch .LBB8_215
.LBB8_214:
	s_mov_b64 s[70:71], -1
                                        ; implicit-def: $vgpr0_vgpr1
.LBB8_215:
	s_branch .LBB8_24
.LBB8_216:
	s_cmp_lt_i32 s10, 5
	s_cbranch_scc1 .LBB8_221
; %bb.217:
	s_cmp_lt_i32 s10, 8
	s_cbranch_scc1 .LBB8_222
; %bb.218:
	;; [unrolled: 3-line block ×3, first 2 shown]
	s_cmp_gt_i32 s10, 9
	s_cbranch_scc0 .LBB8_224
; %bb.220:
	global_load_dwordx2 v[0:1], v[2:3], off
	s_mov_b64 s[4:5], 0
	s_branch .LBB8_225
.LBB8_221:
                                        ; implicit-def: $vgpr0_vgpr1
	s_branch .LBB8_243
.LBB8_222:
	s_mov_b64 s[4:5], -1
                                        ; implicit-def: $vgpr0_vgpr1
	s_branch .LBB8_231
.LBB8_223:
	s_mov_b64 s[4:5], -1
                                        ; implicit-def: $vgpr0_vgpr1
	s_branch .LBB8_228
.LBB8_224:
	s_mov_b64 s[4:5], -1
                                        ; implicit-def: $vgpr0_vgpr1
.LBB8_225:
	s_andn2_b64 vcc, exec, s[4:5]
	s_cbranch_vccnz .LBB8_227
; %bb.226:
	global_load_dword v0, v[2:3], off
	s_waitcnt vmcnt(0)
	v_cvt_f64_f32_e32 v[0:1], v0
.LBB8_227:
	s_mov_b64 s[4:5], 0
.LBB8_228:
	s_andn2_b64 vcc, exec, s[4:5]
	s_cbranch_vccnz .LBB8_230
; %bb.229:
	global_load_dword v0, v[2:3], off
	s_waitcnt vmcnt(0)
	v_cvt_f32_f16_e32 v0, v0
	v_cvt_f64_f32_e32 v[0:1], v0
.LBB8_230:
	s_mov_b64 s[4:5], 0
.LBB8_231:
	s_andn2_b64 vcc, exec, s[4:5]
	s_cbranch_vccnz .LBB8_242
; %bb.232:
	s_cmp_lt_i32 s10, 6
	s_cbranch_scc1 .LBB8_235
; %bb.233:
	s_cmp_gt_i32 s10, 6
	s_cbranch_scc0 .LBB8_236
; %bb.234:
	global_load_dwordx2 v[0:1], v[2:3], off
	s_mov_b64 s[4:5], 0
	s_branch .LBB8_237
.LBB8_235:
	s_mov_b64 s[4:5], -1
                                        ; implicit-def: $vgpr0_vgpr1
	s_branch .LBB8_240
.LBB8_236:
	s_mov_b64 s[4:5], -1
                                        ; implicit-def: $vgpr0_vgpr1
.LBB8_237:
	s_andn2_b64 vcc, exec, s[4:5]
	s_cbranch_vccnz .LBB8_239
; %bb.238:
	global_load_dword v0, v[2:3], off
	s_waitcnt vmcnt(0)
	v_cvt_f64_f32_e32 v[0:1], v0
.LBB8_239:
	s_mov_b64 s[4:5], 0
.LBB8_240:
	s_andn2_b64 vcc, exec, s[4:5]
	s_cbranch_vccnz .LBB8_242
; %bb.241:
	global_load_ushort v0, v[2:3], off
	s_waitcnt vmcnt(0)
	v_cvt_f32_f16_e32 v0, v0
	v_cvt_f64_f32_e32 v[0:1], v0
.LBB8_242:
	s_cbranch_execnz .LBB8_262
.LBB8_243:
	s_cmp_lt_i32 s10, 2
	s_cbranch_scc1 .LBB8_247
; %bb.244:
	s_cmp_lt_i32 s10, 3
	s_cbranch_scc1 .LBB8_248
; %bb.245:
	s_cmp_gt_i32 s10, 3
	s_cbranch_scc0 .LBB8_249
; %bb.246:
	global_load_dwordx2 v[0:1], v[2:3], off
	s_mov_b64 s[4:5], 0
	s_waitcnt vmcnt(0)
	v_cvt_f64_i32_e32 v[4:5], v1
	v_cvt_f64_u32_e32 v[0:1], v0
	v_ldexp_f64 v[4:5], v[4:5], 32
	v_add_f64 v[0:1], v[4:5], v[0:1]
	s_branch .LBB8_250
.LBB8_247:
	s_mov_b64 s[4:5], -1
                                        ; implicit-def: $vgpr0_vgpr1
	s_branch .LBB8_256
.LBB8_248:
	s_mov_b64 s[4:5], -1
                                        ; implicit-def: $vgpr0_vgpr1
	s_branch .LBB8_253
.LBB8_249:
	s_mov_b64 s[4:5], -1
                                        ; implicit-def: $vgpr0_vgpr1
.LBB8_250:
	s_andn2_b64 vcc, exec, s[4:5]
	s_cbranch_vccnz .LBB8_252
; %bb.251:
	global_load_dword v0, v[2:3], off
	s_waitcnt vmcnt(0)
	v_cvt_f64_i32_e32 v[0:1], v0
.LBB8_252:
	s_mov_b64 s[4:5], 0
.LBB8_253:
	s_andn2_b64 vcc, exec, s[4:5]
	s_cbranch_vccnz .LBB8_255
; %bb.254:
	global_load_sshort v0, v[2:3], off
	s_waitcnt vmcnt(0)
	v_cvt_f64_i32_e32 v[0:1], v0
.LBB8_255:
	s_mov_b64 s[4:5], 0
.LBB8_256:
	s_andn2_b64 vcc, exec, s[4:5]
	s_cbranch_vccnz .LBB8_262
; %bb.257:
	s_cmp_gt_i32 s10, 0
	s_cbranch_scc0 .LBB8_259
; %bb.258:
	global_load_sbyte v0, v[2:3], off
	s_mov_b64 s[4:5], 0
	s_waitcnt vmcnt(0)
	v_cvt_f64_i32_e32 v[0:1], v0
	s_branch .LBB8_260
.LBB8_259:
	s_mov_b64 s[4:5], -1
                                        ; implicit-def: $vgpr0_vgpr1
.LBB8_260:
	s_andn2_b64 vcc, exec, s[4:5]
	s_cbranch_vccnz .LBB8_262
; %bb.261:
	global_load_ubyte v0, v[2:3], off
	s_waitcnt vmcnt(0)
	v_cvt_f64_u32_e32 v[0:1], v0
.LBB8_262:
	s_branch .LBB8_25
.LBB8_263:
	s_mov_b64 s[4:5], 0
.LBB8_264:
	s_mov_b64 s[6:7], 0
                                        ; implicit-def: $vgpr40
.LBB8_265:
	s_and_b64 s[68:69], s[4:5], exec
	s_and_b64 s[70:71], s[70:71], exec
	s_orn2_b64 s[6:7], s[6:7], exec
.LBB8_266:
	s_or_b64 exec, exec, s[72:73]
	s_mov_b64 s[8:9], 0
	s_mov_b64 s[4:5], 0
                                        ; implicit-def: $vgpr0_vgpr1
                                        ; implicit-def: $vgpr38
                                        ; implicit-def: $vgpr2_vgpr3
	s_and_saveexec_b64 s[72:73], s[6:7]
	s_cbranch_execz .LBB8_273
; %bb.267:
	v_cmp_gt_i32_e32 vcc, s87, v40
	s_mov_b64 s[4:5], -1
	s_mov_b64 s[74:75], s[70:71]
	s_mov_b64 s[76:77], s[68:69]
	s_and_saveexec_b64 s[78:79], vcc
	s_cbranch_execz .LBB8_542
; %bb.268:
	s_andn2_b64 vcc, exec, s[56:57]
	s_cbranch_vccnz .LBB8_276
; %bb.269:
	s_andn2_b64 vcc, exec, s[66:67]
	s_cbranch_vccnz .LBB8_277
; %bb.270:
	s_add_i32 s29, s88, 1
	s_cmp_eq_u32 s84, 2
	s_cbranch_scc1 .LBB8_278
; %bb.271:
	s_and_b32 s28, s29, 28
	s_waitcnt vmcnt(0)
	v_mov_b32_e32 v0, 0
	s_mov_b32 s30, 0
	s_mov_b64 s[24:25], s[52:53]
	s_mov_b64 s[26:27], s[64:65]
	v_mov_b32_e32 v38, 0
	v_mov_b32_e32 v1, v40
.LBB8_272:                              ; =>This Inner Loop Header: Depth=1
	s_load_dwordx8 s[12:19], s[24:25], 0x4
	s_load_dwordx4 s[20:23], s[24:25], 0x24
	s_load_dwordx8 s[4:11], s[26:27], 0x0
	s_add_u32 s24, s24, 48
	s_addc_u32 s25, s25, 0
	s_waitcnt lgkmcnt(0)
	v_mul_hi_u32 v2, s13, v1
	s_add_i32 s30, s30, 4
	s_add_u32 s26, s26, 32
	s_addc_u32 s27, s27, 0
	v_add_u32_e32 v2, v1, v2
	v_lshrrev_b32_e32 v2, s14, v2
	v_mul_lo_u32 v3, v2, s12
	v_mul_hi_u32 v4, s16, v2
	s_cmp_eq_u32 s28, s30
	v_sub_u32_e32 v1, v1, v3
	v_add_u32_e32 v3, v2, v4
	v_mul_lo_u32 v4, v1, s4
	v_mul_lo_u32 v5, v1, s5
	v_lshrrev_b32_e32 v1, s17, v3
	v_mul_lo_u32 v3, v1, s15
	v_mul_hi_u32 v6, s19, v1
	v_sub_u32_e32 v2, v2, v3
	v_add_u32_e32 v3, v1, v6
	v_lshrrev_b32_e32 v3, s20, v3
	v_mul_hi_u32 v7, s22, v3
	v_mul_lo_u32 v8, v3, s18
	v_mul_lo_u32 v6, v2, s6
	v_mul_lo_u32 v2, v2, s7
	v_sub_u32_e32 v8, v1, v8
	v_add_u32_e32 v1, v3, v7
	v_lshrrev_b32_e32 v1, s23, v1
	v_mul_lo_u32 v7, v1, s21
	v_mul_lo_u32 v9, v8, s8
	;; [unrolled: 1-line block ×3, first 2 shown]
	v_add3_u32 v4, v4, v38, v6
	v_sub_u32_e32 v3, v3, v7
	v_mul_lo_u32 v7, v3, s10
	v_mul_lo_u32 v3, v3, s11
	v_add3_u32 v0, v5, v0, v2
	v_add3_u32 v38, v9, v4, v7
	;; [unrolled: 1-line block ×3, first 2 shown]
	s_cbranch_scc0 .LBB8_272
	s_branch .LBB8_279
.LBB8_273:
	s_or_b64 exec, exec, s[72:73]
	s_waitcnt lgkmcnt(0)
	s_mov_b64 s[38:39], 0
	s_and_saveexec_b64 s[6:7], s[70:71]
	s_cbranch_execnz .LBB8_918
.LBB8_274:
	s_or_b64 exec, exec, s[6:7]
	s_and_saveexec_b64 s[6:7], s[76:77]
	s_xor_b64 s[6:7], exec, s[6:7]
	s_cbranch_execz .LBB8_919
.LBB8_275:
	s_waitcnt vmcnt(0)
	global_load_ubyte v3, v[0:1], off
	v_mov_b32_e32 v4, 0x3ff00000
	v_mov_b32_e32 v2, 0
	s_or_b64 s[4:5], s[4:5], exec
	s_waitcnt vmcnt(0)
	v_cmp_ne_u16_e32 vcc, 0, v3
	v_cndmask_b32_e32 v3, 0, v4, vcc
	s_or_b64 exec, exec, s[6:7]
	s_and_saveexec_b64 s[6:7], s[8:9]
	s_cbranch_execz .LBB8_965
	s_branch .LBB8_920
.LBB8_276:
                                        ; implicit-def: $vgpr38
                                        ; implicit-def: $vgpr0
	s_andn2_b64 vcc, exec, s[4:5]
	s_cbranch_vccz .LBB8_283
	s_branch .LBB8_285
.LBB8_277:
	v_mov_b32_e32 v38, 0
	s_waitcnt vmcnt(0)
	v_mov_b32_e32 v0, 0
	s_branch .LBB8_282
.LBB8_278:
	s_mov_b32 s28, 0
	v_mov_b32_e32 v38, 0
	s_waitcnt vmcnt(0)
	v_mov_b32_e32 v0, 0
	v_mov_b32_e32 v1, v40
.LBB8_279:
	s_and_b32 s8, s29, 3
	s_cmp_eq_u32 s8, 0
	s_cbranch_scc1 .LBB8_282
; %bb.280:
	s_lshl_b32 s4, s28, 3
	s_add_u32 s4, s52, s4
	s_addc_u32 s5, s53, 0
	s_add_u32 s4, s4, 0xc4
	s_addc_u32 s5, s5, 0
	s_mul_i32 s6, s28, 12
	s_add_u32 s6, s52, s6
	s_addc_u32 s7, s53, 0
.LBB8_281:                              ; =>This Inner Loop Header: Depth=1
	s_load_dwordx2 s[10:11], s[6:7], 0x4
	s_load_dword s9, s[6:7], 0xc
	s_load_dwordx2 s[12:13], s[4:5], 0x0
	s_add_u32 s6, s6, 12
	s_addc_u32 s7, s7, 0
	s_waitcnt lgkmcnt(0)
	v_mul_hi_u32 v2, s11, v1
	s_add_u32 s4, s4, 8
	s_addc_u32 s5, s5, 0
	s_add_i32 s8, s8, -1
	v_add_u32_e32 v2, v1, v2
	v_lshrrev_b32_e32 v2, s9, v2
	v_mul_lo_u32 v3, v2, s10
	s_cmp_lg_u32 s8, 0
	v_sub_u32_e32 v1, v1, v3
	v_mad_u64_u32 v[38:39], s[10:11], v1, s12, v[38:39]
	v_mad_u64_u32 v[0:1], s[10:11], v1, s13, v[0:1]
	v_mov_b32_e32 v1, v2
	s_cbranch_scc1 .LBB8_281
.LBB8_282:
	s_cbranch_execnz .LBB8_285
.LBB8_283:
	s_waitcnt vmcnt(0) lgkmcnt(0)
	v_mul_hi_u32 v0, s49, v40
	s_andn2_b64 vcc, exec, s[62:63]
	v_add_u32_e32 v0, v40, v0
	v_lshrrev_b32_e32 v1, s50, v0
	v_mul_lo_u32 v0, v1, s48
	v_sub_u32_e32 v0, v40, v0
	v_mul_lo_u32 v38, v0, s44
	v_mul_lo_u32 v0, v0, s45
	s_cbranch_vccnz .LBB8_285
; %bb.284:
	v_mul_hi_u32 v2, s60, v1
	v_add_u32_e32 v2, v1, v2
	v_lshrrev_b32_e32 v2, s61, v2
	v_mul_lo_u32 v2, v2, s51
	v_sub_u32_e32 v1, v1, v2
	v_mad_u64_u32 v[38:39], s[4:5], v1, s46, v[38:39]
	v_mad_u64_u32 v[0:1], s[4:5], v1, s47, v[0:1]
.LBB8_285:
	s_waitcnt vmcnt(0) lgkmcnt(0)
	v_mov_b32_e32 v1, s39
	s_and_b32 s10, 0xffff, s86
	v_add_co_u32_e32 v2, vcc, s38, v0
	s_cmp_lt_i32 s10, 11
	v_addc_co_u32_e32 v3, vcc, 0, v1, vcc
	s_cbranch_scc1 .LBB8_292
; %bb.286:
	s_cmp_gt_i32 s10, 25
	s_cbranch_scc0 .LBB8_301
; %bb.287:
	s_cmp_gt_i32 s10, 28
	s_cbranch_scc0 .LBB8_303
; %bb.288:
	s_cmp_gt_i32 s10, 43
	s_cbranch_scc0 .LBB8_305
; %bb.289:
	s_cmp_gt_i32 s10, 45
	s_cbranch_scc0 .LBB8_309
; %bb.290:
	s_cmp_eq_u32 s10, 46
	s_mov_b64 s[6:7], 0
	s_cbranch_scc0 .LBB8_313
; %bb.291:
	global_load_dword v0, v[2:3], off
	s_mov_b64 s[4:5], -1
	s_mov_b64 s[74:75], 0
	s_waitcnt vmcnt(0)
	v_lshlrev_b32_e32 v0, 16, v0
	v_cvt_f64_f32_e32 v[0:1], v0
	s_branch .LBB8_314
.LBB8_292:
	s_mov_b64 s[4:5], 0
                                        ; implicit-def: $vgpr0_vgpr1
	s_mov_b64 s[74:75], s[70:71]
	s_cbranch_execnz .LBB8_491
.LBB8_293:
	s_andn2_b64 vcc, exec, s[4:5]
	s_cbranch_vccnz .LBB8_539
.LBB8_294:
	s_getpc_b64 s[4:5]
	s_add_u32 s4, s4, _ZZZZN2at6native12_GLOBAL__N_121bessel_j1_kernel_cudaERNS_18TensorIteratorBaseEENKUlvE_clEvENKUlvE_clEvENKUldE_clEd@rel32@lo+4
	s_addc_u32 s5, s5, _ZZZZN2at6native12_GLOBAL__N_121bessel_j1_kernel_cudaERNS_18TensorIteratorBaseEENKUlvE_clEvENKUlvE_clEvENKUldE_clEd@rel32@hi+12
	s_swappc_b64 s[30:31], s[4:5]
	v_mov_b32_e32 v2, s37
	s_and_b32 s12, s85, 0xff
	v_add_co_u32_e32 v4, vcc, s36, v38
	s_cmp_lt_i32 s12, 11
	v_addc_co_u32_e32 v5, vcc, 0, v2, vcc
	s_cbranch_scc1 .LBB8_302
; %bb.295:
	s_and_b32 s13, 0xffff, s12
	s_cmp_gt_i32 s13, 25
	s_cbranch_scc0 .LBB8_304
; %bb.296:
	s_cmp_gt_i32 s13, 28
	s_cbranch_scc0 .LBB8_306
; %bb.297:
	;; [unrolled: 3-line block ×4, first 2 shown]
	s_mov_b64 s[8:9], 0
	s_mov_b64 s[4:5], -1
	s_cmp_eq_u32 s13, 46
	s_mov_b64 s[6:7], 0
	s_cbranch_scc0 .LBB8_318
; %bb.300:
	v_cvt_f32_f64_e32 v2, v[0:1]
	s_movk_i32 s4, 0x7fff
	v_mov_b32_e32 v3, 0x7fc0
	s_mov_b64 s[6:7], -1
	v_bfe_u32 v6, v2, 16, 1
	v_cmp_o_f32_e32 vcc, v2, v2
	v_add3_u32 v2, v2, v6, s4
	v_cndmask_b32_sdwa v2, v3, v2, vcc dst_sel:DWORD dst_unused:UNUSED_PAD src0_sel:DWORD src1_sel:WORD_1
	global_store_dword v[4:5], v2, off
	s_mov_b64 s[4:5], 0
	s_branch .LBB8_318
.LBB8_301:
	s_mov_b64 s[6:7], -1
	s_mov_b64 s[4:5], 0
	s_mov_b64 s[74:75], s[70:71]
                                        ; implicit-def: $vgpr0_vgpr1
	s_branch .LBB8_457
.LBB8_302:
	s_mov_b64 s[8:9], -1
	s_mov_b64 s[6:7], 0
	s_mov_b64 s[4:5], s[68:69]
	s_branch .LBB8_387
.LBB8_303:
	s_mov_b64 s[6:7], -1
	s_mov_b64 s[4:5], 0
	s_mov_b64 s[74:75], s[70:71]
                                        ; implicit-def: $vgpr0_vgpr1
	s_branch .LBB8_436
.LBB8_304:
	s_mov_b64 s[8:9], -1
	s_mov_b64 s[6:7], 0
	s_mov_b64 s[4:5], s[68:69]
	s_branch .LBB8_345
.LBB8_305:
	s_mov_b64 s[6:7], -1
	s_mov_b64 s[4:5], 0
	s_mov_b64 s[74:75], s[70:71]
                                        ; implicit-def: $vgpr0_vgpr1
	s_branch .LBB8_431
.LBB8_306:
	s_mov_b64 s[8:9], -1
	s_mov_b64 s[6:7], 0
	s_mov_b64 s[4:5], s[68:69]
	s_branch .LBB8_328
.LBB8_307:
	s_andn2_saveexec_b64 s[10:11], s[10:11]
	s_cbranch_execz .LBB8_68
.LBB8_308:
	s_mov_b32 s14, 0x46000000
	v_add_f32_e64 v3, |v2|, s14
	v_and_b32_e32 v3, 0xff, v3
	v_cmp_ne_u32_e32 vcc, 0, v3
	s_andn2_b64 s[8:9], s[8:9], exec
	s_and_b64 s[14:15], vcc, exec
	s_or_b64 s[8:9], s[8:9], s[14:15]
	s_or_b64 exec, exec, s[10:11]
	v_mov_b32_e32 v6, 0
	s_and_saveexec_b64 s[10:11], s[8:9]
	s_cbranch_execnz .LBB8_69
	s_branch .LBB8_70
.LBB8_309:
	s_mov_b64 s[6:7], -1
	s_mov_b64 s[4:5], 0
	s_mov_b64 s[74:75], s[70:71]
                                        ; implicit-def: $vgpr0_vgpr1
	s_branch .LBB8_314
.LBB8_310:
	s_mov_b64 s[8:9], -1
	s_mov_b64 s[6:7], 0
	s_mov_b64 s[4:5], s[68:69]
	s_branch .LBB8_324
.LBB8_311:
	s_andn2_saveexec_b64 s[10:11], s[10:11]
	s_cbranch_execz .LBB8_81
.LBB8_312:
	s_mov_b32 s14, 0x42800000
	v_add_f32_e64 v3, |v2|, s14
	v_and_b32_e32 v3, 0xff, v3
	v_cmp_ne_u32_e32 vcc, 0, v3
	s_andn2_b64 s[8:9], s[8:9], exec
	s_and_b64 s[14:15], vcc, exec
	s_or_b64 s[8:9], s[8:9], s[14:15]
	s_or_b64 exec, exec, s[10:11]
	v_mov_b32_e32 v6, 0
	s_and_saveexec_b64 s[10:11], s[8:9]
	s_cbranch_execnz .LBB8_82
	s_branch .LBB8_83
.LBB8_313:
	s_mov_b64 s[74:75], -1
                                        ; implicit-def: $vgpr0_vgpr1
	s_mov_b64 s[4:5], 0
.LBB8_314:
	s_and_b64 vcc, exec, s[6:7]
	s_cbranch_vccz .LBB8_430
; %bb.315:
	s_cmp_eq_u32 s10, 44
	s_cbranch_scc0 .LBB8_429
; %bb.316:
	global_load_ubyte v4, v[2:3], off
	s_movk_i32 s6, 0xff
	v_bfrev_b32_e32 v5, 4
	v_mov_b32_e32 v6, 0x7ff80000
	v_bfrev_b32_e32 v7, 28
	s_mov_b64 s[4:5], -1
	s_mov_b64 s[74:75], 0
	s_waitcnt vmcnt(0)
	v_lshlrev_b32_e32 v0, 23, v4
	v_cvt_f64_f32_e32 v[0:1], v0
	v_cmp_ne_u32_e32 vcc, s6, v4
	v_cndmask_b32_e32 v0, v5, v0, vcc
	v_cndmask_b32_e32 v1, v6, v1, vcc
	v_cmp_ne_u32_e32 vcc, 0, v4
	v_cndmask_b32_e32 v1, v7, v1, vcc
	v_cndmask_b32_e32 v0, 0, v0, vcc
	s_branch .LBB8_430
.LBB8_317:
	s_mov_b64 s[8:9], -1
	s_mov_b64 s[6:7], 0
	s_mov_b64 s[4:5], s[68:69]
.LBB8_318:
	s_and_b64 vcc, exec, s[8:9]
	s_cbranch_vccz .LBB8_323
; %bb.319:
	s_cmp_eq_u32 s13, 44
	s_mov_b64 s[4:5], -1
	s_cbranch_scc0 .LBB8_323
; %bb.320:
	v_cvt_f32_f64_e32 v2, v[0:1]
	s_movk_i32 s4, 0xff
	v_mov_b32_e32 v6, 0xff
	v_bfe_u32 v3, v2, 23, 8
	v_cmp_ne_u32_e32 vcc, s4, v3
	s_and_saveexec_b64 s[6:7], vcc
; %bb.321:
	s_mov_b32 s4, 0x3fffff
	v_lshrrev_b32_e32 v6, 23, v2
	v_and_b32_e32 v7, 0x400000, v2
	v_and_or_b32 v2, v2, s4, v3
	v_cmp_ne_u32_e32 vcc, 0, v7
	v_cmp_ne_u32_e64 s[4:5], 0, v2
	s_and_b64 s[4:5], vcc, s[4:5]
	v_cndmask_b32_e64 v2, 0, 1, s[4:5]
	v_add_u32_e32 v6, v6, v2
; %bb.322:
	s_or_b64 exec, exec, s[6:7]
	s_mov_b64 s[6:7], -1
	s_mov_b64 s[4:5], 0
	global_store_byte v[4:5], v6, off
.LBB8_323:
	s_mov_b64 s[8:9], 0
.LBB8_324:
	s_and_b64 vcc, exec, s[8:9]
	s_cbranch_vccz .LBB8_327
; %bb.325:
	s_cmp_eq_u32 s13, 29
	s_mov_b64 s[4:5], -1
	s_cbranch_scc0 .LBB8_327
; %bb.326:
	v_trunc_f64_e32 v[2:3], v[0:1]
	s_movk_i32 s4, 0xffe0
	s_mov_b64 s[6:7], -1
	s_mov_b64 s[8:9], 0
	v_ldexp_f64 v[6:7], v[2:3], s4
	s_mov_b32 s4, 0
	s_mov_b32 s5, 0xc1f00000
	v_floor_f64_e32 v[6:7], v[6:7]
	v_fma_f64 v[2:3], v[6:7], s[4:5], v[2:3]
	v_cvt_u32_f64_e32 v7, v[6:7]
	s_mov_b64 s[4:5], 0
	v_cvt_u32_f64_e32 v6, v[2:3]
	global_store_dwordx2 v[4:5], v[6:7], off
	s_branch .LBB8_328
.LBB8_327:
	s_mov_b64 s[8:9], 0
.LBB8_328:
	s_and_b64 vcc, exec, s[8:9]
	s_cbranch_vccz .LBB8_344
; %bb.329:
	s_cmp_lt_i32 s13, 27
	s_mov_b64 s[6:7], -1
	s_cbranch_scc1 .LBB8_335
; %bb.330:
	v_cvt_u32_f64_e32 v2, v[0:1]
	s_cmp_gt_i32 s13, 27
	s_cbranch_scc0 .LBB8_332
; %bb.331:
	s_mov_b64 s[6:7], 0
	global_store_dword v[4:5], v2, off
.LBB8_332:
	s_andn2_b64 vcc, exec, s[6:7]
	s_cbranch_vccnz .LBB8_334
; %bb.333:
	global_store_short v[4:5], v2, off
.LBB8_334:
	s_mov_b64 s[6:7], 0
.LBB8_335:
	s_andn2_b64 vcc, exec, s[6:7]
	s_cbranch_vccnz .LBB8_343
; %bb.336:
	v_cvt_f32_f64_e32 v2, v[0:1]
	s_mov_b32 s6, 0x43800000
	v_mov_b32_e32 v6, 0x80
	v_and_b32_e32 v3, 0x7fffffff, v2
	v_cmp_gt_u32_e32 vcc, s6, v3
	s_and_saveexec_b64 s[6:7], vcc
	s_cbranch_execz .LBB8_342
; %bb.337:
	s_mov_b32 s8, 0x3bffffff
	v_cmp_lt_u32_e32 vcc, s8, v3
	s_mov_b64 s[8:9], 0
                                        ; implicit-def: $vgpr3
	s_and_saveexec_b64 s[10:11], vcc
	s_xor_b64 s[10:11], exec, s[10:11]
	s_cbranch_execz .LBB8_570
; %bb.338:
	v_bfe_u32 v3, v2, 20, 1
	s_mov_b32 s14, 0x487ffff
	v_add3_u32 v3, v2, v3, s14
	s_mov_b64 s[8:9], exec
	v_lshrrev_b32_e32 v3, 20, v3
	s_andn2_saveexec_b64 s[10:11], s[10:11]
	s_cbranch_execnz .LBB8_571
.LBB8_339:
	s_or_b64 exec, exec, s[10:11]
	v_mov_b32_e32 v6, 0
	s_and_saveexec_b64 s[10:11], s[8:9]
.LBB8_340:
	v_lshrrev_b32_e32 v2, 24, v2
	s_movk_i32 s8, 0x80
	v_and_or_b32 v6, v2, s8, v3
.LBB8_341:
	s_or_b64 exec, exec, s[10:11]
.LBB8_342:
	s_or_b64 exec, exec, s[6:7]
	global_store_byte v[4:5], v6, off
.LBB8_343:
	s_mov_b64 s[6:7], -1
.LBB8_344:
	s_mov_b64 s[8:9], 0
.LBB8_345:
	s_and_b64 vcc, exec, s[8:9]
	s_cbranch_vccz .LBB8_386
; %bb.346:
	s_cmp_gt_i32 s13, 22
	s_mov_b64 s[8:9], -1
	s_cbranch_scc0 .LBB8_378
; %bb.347:
	s_cmp_lt_i32 s13, 24
	s_mov_b64 s[6:7], -1
	s_cbranch_scc1 .LBB8_367
; %bb.348:
	s_cmp_gt_i32 s13, 24
	s_cbranch_scc0 .LBB8_356
; %bb.349:
	v_cvt_f32_f64_e32 v2, v[0:1]
	s_mov_b32 s6, 0x47800000
	v_mov_b32_e32 v6, 0x80
	v_and_b32_e32 v3, 0x7fffffff, v2
	v_cmp_gt_u32_e32 vcc, s6, v3
	s_and_saveexec_b64 s[6:7], vcc
	s_cbranch_execz .LBB8_355
; %bb.350:
	s_mov_b32 s8, 0x37ffffff
	v_cmp_lt_u32_e32 vcc, s8, v3
	s_mov_b64 s[8:9], 0
                                        ; implicit-def: $vgpr3
	s_and_saveexec_b64 s[10:11], vcc
	s_xor_b64 s[10:11], exec, s[10:11]
	s_cbranch_execz .LBB8_573
; %bb.351:
	v_bfe_u32 v3, v2, 21, 1
	s_mov_b32 s14, 0x88fffff
	v_add3_u32 v3, v2, v3, s14
	s_mov_b64 s[8:9], exec
	v_lshrrev_b32_e32 v3, 21, v3
	s_andn2_saveexec_b64 s[10:11], s[10:11]
	s_cbranch_execnz .LBB8_574
.LBB8_352:
	s_or_b64 exec, exec, s[10:11]
	v_mov_b32_e32 v6, 0
	s_and_saveexec_b64 s[10:11], s[8:9]
.LBB8_353:
	v_lshrrev_b32_e32 v2, 24, v2
	s_movk_i32 s8, 0x80
	v_and_or_b32 v6, v2, s8, v3
.LBB8_354:
	s_or_b64 exec, exec, s[10:11]
.LBB8_355:
	s_or_b64 exec, exec, s[6:7]
	s_mov_b64 s[6:7], 0
	global_store_byte v[4:5], v6, off
.LBB8_356:
	s_and_b64 vcc, exec, s[6:7]
	s_cbranch_vccz .LBB8_366
; %bb.357:
	v_cvt_f32_f64_e32 v2, v[0:1]
	s_mov_b32 s6, 0x43f00000
                                        ; implicit-def: $vgpr3
	v_and_b32_e32 v6, 0x7fffffff, v2
	v_cmp_gt_u32_e32 vcc, s6, v6
	s_and_saveexec_b64 s[6:7], vcc
	s_xor_b64 s[6:7], exec, s[6:7]
	s_cbranch_execz .LBB8_363
; %bb.358:
	s_mov_b32 s8, 0x3c7fffff
	v_cmp_lt_u32_e32 vcc, s8, v6
                                        ; implicit-def: $vgpr3
	s_and_saveexec_b64 s[8:9], vcc
	s_xor_b64 s[8:9], exec, s[8:9]
; %bb.359:
	v_bfe_u32 v3, v2, 20, 1
	s_mov_b32 s10, 0x407ffff
	v_add3_u32 v3, v2, v3, s10
	v_lshrrev_b32_e32 v6, 20, v3
	v_and_b32_e32 v3, 0xff00000, v3
	s_mov_b32 s10, 0x7f00000
	v_mov_b32_e32 v7, 0x7e
	v_cmp_ne_u32_e32 vcc, s10, v3
	v_cndmask_b32_e32 v3, v7, v6, vcc
; %bb.360:
	s_andn2_saveexec_b64 s[8:9], s[8:9]
; %bb.361:
	s_mov_b32 s10, 0x46800000
	v_add_f32_e64 v3, |v2|, s10
; %bb.362:
	s_or_b64 exec, exec, s[8:9]
                                        ; implicit-def: $vgpr6
.LBB8_363:
	s_andn2_saveexec_b64 s[6:7], s[6:7]
; %bb.364:
	s_mov_b32 s8, 0x7f800000
	v_mov_b32_e32 v3, 0x7e
	v_mov_b32_e32 v7, 0x7f
	v_cmp_lt_u32_e32 vcc, s8, v6
	v_cndmask_b32_e32 v3, v3, v7, vcc
; %bb.365:
	s_or_b64 exec, exec, s[6:7]
	v_lshrrev_b32_e32 v2, 24, v2
	s_movk_i32 s6, 0x80
	v_and_or_b32 v2, v2, s6, v3
	global_store_byte v[4:5], v2, off
.LBB8_366:
	s_mov_b64 s[6:7], 0
.LBB8_367:
	s_andn2_b64 vcc, exec, s[6:7]
	s_cbranch_vccnz .LBB8_377
; %bb.368:
	v_cvt_f32_f64_e32 v2, v[0:1]
	s_mov_b32 s6, 0x47800000
                                        ; implicit-def: $vgpr3
	v_and_b32_e32 v6, 0x7fffffff, v2
	v_cmp_gt_u32_e32 vcc, s6, v6
	s_and_saveexec_b64 s[6:7], vcc
	s_xor_b64 s[6:7], exec, s[6:7]
	s_cbranch_execz .LBB8_374
; %bb.369:
	s_mov_b32 s8, 0x387fffff
	v_cmp_lt_u32_e32 vcc, s8, v6
                                        ; implicit-def: $vgpr3
	s_and_saveexec_b64 s[8:9], vcc
	s_xor_b64 s[8:9], exec, s[8:9]
; %bb.370:
	v_bfe_u32 v3, v2, 21, 1
	s_mov_b32 s10, 0x80fffff
	v_add3_u32 v3, v2, v3, s10
	v_lshrrev_b32_e32 v3, 21, v3
; %bb.371:
	s_andn2_saveexec_b64 s[8:9], s[8:9]
; %bb.372:
	s_mov_b32 s10, 0x43000000
	v_add_f32_e64 v3, |v2|, s10
; %bb.373:
	s_or_b64 exec, exec, s[8:9]
                                        ; implicit-def: $vgpr6
.LBB8_374:
	s_andn2_saveexec_b64 s[6:7], s[6:7]
; %bb.375:
	s_mov_b32 s8, 0x7f800000
	v_mov_b32_e32 v3, 0x7c
	v_mov_b32_e32 v7, 0x7f
	v_cmp_lt_u32_e32 vcc, s8, v6
	v_cndmask_b32_e32 v3, v3, v7, vcc
; %bb.376:
	s_or_b64 exec, exec, s[6:7]
	v_lshrrev_b32_e32 v2, 24, v2
	s_movk_i32 s6, 0x80
	v_and_or_b32 v2, v2, s6, v3
	global_store_byte v[4:5], v2, off
.LBB8_377:
	s_mov_b64 s[8:9], 0
	s_mov_b64 s[6:7], -1
.LBB8_378:
	s_andn2_b64 vcc, exec, s[8:9]
	s_cbranch_vccnz .LBB8_386
; %bb.379:
	s_cmp_gt_i32 s13, 14
	s_mov_b64 s[8:9], -1
	s_cbranch_scc0 .LBB8_383
; %bb.380:
	s_cmp_eq_u32 s13, 15
	s_mov_b64 s[4:5], -1
	s_cbranch_scc0 .LBB8_382
; %bb.381:
	v_cvt_f32_f64_e32 v2, v[0:1]
	s_movk_i32 s4, 0x7fff
	v_mov_b32_e32 v3, 0x7fc0
	s_mov_b64 s[6:7], -1
	v_bfe_u32 v6, v2, 16, 1
	v_cmp_o_f32_e32 vcc, v2, v2
	v_add3_u32 v2, v2, v6, s4
	v_cndmask_b32_sdwa v2, v3, v2, vcc dst_sel:DWORD dst_unused:UNUSED_PAD src0_sel:DWORD src1_sel:WORD_1
	global_store_short v[4:5], v2, off
	s_mov_b64 s[4:5], 0
.LBB8_382:
	s_mov_b64 s[8:9], 0
.LBB8_383:
	s_and_b64 vcc, exec, s[8:9]
	s_cbranch_vccz .LBB8_386
; %bb.384:
	s_cmp_eq_u32 s13, 11
	s_mov_b64 s[4:5], -1
	s_cbranch_scc0 .LBB8_386
; %bb.385:
	v_cmp_neq_f64_e32 vcc, 0, v[0:1]
	s_mov_b64 s[4:5], 0
	s_mov_b64 s[6:7], -1
	v_cndmask_b32_e64 v2, 0, 1, vcc
	global_store_byte v[4:5], v2, off
.LBB8_386:
	s_mov_b64 s[8:9], 0
.LBB8_387:
	s_and_b64 vcc, exec, s[8:9]
	s_cbranch_vccz .LBB8_426
; %bb.388:
	s_and_b32 s8, 0xffff, s12
	s_cmp_lt_i32 s8, 5
	s_mov_b64 s[6:7], -1
	s_cbranch_scc1 .LBB8_409
; %bb.389:
	s_cmp_lt_i32 s8, 8
	s_cbranch_scc1 .LBB8_399
; %bb.390:
	s_cmp_lt_i32 s8, 9
	s_cbranch_scc1 .LBB8_396
; %bb.391:
	s_cmp_gt_i32 s8, 9
	s_cbranch_scc0 .LBB8_393
; %bb.392:
	v_mov_b32_e32 v2, 0
	v_mov_b32_e32 v3, v2
	s_mov_b64 s[6:7], 0
	global_store_dwordx4 v[4:5], v[0:3], off
.LBB8_393:
	s_andn2_b64 vcc, exec, s[6:7]
	s_cbranch_vccnz .LBB8_395
; %bb.394:
	v_cvt_f32_f64_e32 v2, v[0:1]
	v_mov_b32_e32 v3, 0
	global_store_dwordx2 v[4:5], v[2:3], off
.LBB8_395:
	s_mov_b64 s[6:7], 0
.LBB8_396:
	s_andn2_b64 vcc, exec, s[6:7]
	s_cbranch_vccnz .LBB8_398
; %bb.397:
	s_movk_i32 s6, 0x1ff
	v_and_or_b32 v2, v1, s6, v0
	v_cmp_ne_u32_e32 vcc, 0, v2
	v_cndmask_b32_e64 v2, 0, 1, vcc
	v_lshrrev_b32_e32 v3, 8, v1
	s_movk_i32 s6, 0xffe
	v_bfe_u32 v6, v1, 20, 11
	v_and_or_b32 v2, v3, s6, v2
	v_sub_u32_e32 v7, 0x3f1, v6
	v_or_b32_e32 v3, 0x1000, v2
	v_med3_i32 v7, v7, 0, 13
	v_lshrrev_b32_e32 v8, v7, v3
	v_lshlrev_b32_e32 v7, v7, v8
	v_cmp_ne_u32_e32 vcc, v7, v3
	v_cndmask_b32_e64 v3, 0, 1, vcc
	v_add_u32_e32 v6, 0xfffffc10, v6
	v_or_b32_e32 v3, v8, v3
	v_lshl_or_b32 v7, v6, 12, v2
	v_cmp_gt_i32_e32 vcc, 1, v6
	v_cndmask_b32_e32 v3, v7, v3, vcc
	v_and_b32_e32 v7, 7, v3
	v_cmp_lt_i32_e32 vcc, 5, v7
	v_cndmask_b32_e64 v8, 0, 1, vcc
	v_cmp_eq_u32_e32 vcc, 3, v7
	v_cndmask_b32_e64 v7, 0, 1, vcc
	v_or_b32_e32 v7, v7, v8
	v_lshrrev_b32_e32 v3, 2, v3
	v_add_u32_e32 v3, v3, v7
	v_mov_b32_e32 v7, 0x7c00
	v_cmp_gt_i32_e32 vcc, 31, v6
	v_cndmask_b32_e32 v3, v7, v3, vcc
	v_mov_b32_e32 v8, 0x7e00
	v_cmp_ne_u32_e32 vcc, 0, v2
	s_movk_i32 s6, 0x40f
	v_cndmask_b32_e32 v2, v7, v8, vcc
	v_cmp_eq_u32_e32 vcc, s6, v6
	v_cndmask_b32_e32 v2, v3, v2, vcc
	v_lshrrev_b32_e32 v3, 16, v1
	s_mov_b32 s6, 0x8000
	v_and_or_b32 v2, v3, s6, v2
	v_and_b32_e32 v2, 0xffff, v2
	global_store_dword v[4:5], v2, off
.LBB8_398:
	s_mov_b64 s[6:7], 0
.LBB8_399:
	s_andn2_b64 vcc, exec, s[6:7]
	s_cbranch_vccnz .LBB8_408
; %bb.400:
	s_cmp_lt_i32 s8, 6
	s_mov_b64 s[6:7], -1
	s_cbranch_scc1 .LBB8_406
; %bb.401:
	s_cmp_gt_i32 s8, 6
	s_cbranch_scc0 .LBB8_403
; %bb.402:
	s_mov_b64 s[6:7], 0
	global_store_dwordx2 v[4:5], v[0:1], off
.LBB8_403:
	s_andn2_b64 vcc, exec, s[6:7]
	s_cbranch_vccnz .LBB8_405
; %bb.404:
	v_cvt_f32_f64_e32 v2, v[0:1]
	global_store_dword v[4:5], v2, off
.LBB8_405:
	s_mov_b64 s[6:7], 0
.LBB8_406:
	s_andn2_b64 vcc, exec, s[6:7]
	s_cbranch_vccnz .LBB8_408
; %bb.407:
	s_movk_i32 s6, 0x1ff
	v_and_or_b32 v2, v1, s6, v0
	v_cmp_ne_u32_e32 vcc, 0, v2
	v_cndmask_b32_e64 v2, 0, 1, vcc
	v_lshrrev_b32_e32 v3, 8, v1
	s_movk_i32 s6, 0xffe
	v_bfe_u32 v6, v1, 20, 11
	v_and_or_b32 v2, v3, s6, v2
	v_sub_u32_e32 v7, 0x3f1, v6
	v_or_b32_e32 v3, 0x1000, v2
	v_med3_i32 v7, v7, 0, 13
	v_lshrrev_b32_e32 v8, v7, v3
	v_lshlrev_b32_e32 v7, v7, v8
	v_cmp_ne_u32_e32 vcc, v7, v3
	v_cndmask_b32_e64 v3, 0, 1, vcc
	v_add_u32_e32 v6, 0xfffffc10, v6
	v_or_b32_e32 v3, v8, v3
	v_lshl_or_b32 v7, v6, 12, v2
	v_cmp_gt_i32_e32 vcc, 1, v6
	v_cndmask_b32_e32 v3, v7, v3, vcc
	v_and_b32_e32 v7, 7, v3
	v_cmp_lt_i32_e32 vcc, 5, v7
	v_cndmask_b32_e64 v8, 0, 1, vcc
	v_cmp_eq_u32_e32 vcc, 3, v7
	v_cndmask_b32_e64 v7, 0, 1, vcc
	v_or_b32_e32 v7, v7, v8
	v_lshrrev_b32_e32 v3, 2, v3
	v_add_u32_e32 v3, v3, v7
	v_mov_b32_e32 v7, 0x7c00
	v_cmp_gt_i32_e32 vcc, 31, v6
	v_cndmask_b32_e32 v3, v7, v3, vcc
	v_mov_b32_e32 v8, 0x7e00
	v_cmp_ne_u32_e32 vcc, 0, v2
	s_movk_i32 s6, 0x40f
	v_cndmask_b32_e32 v2, v7, v8, vcc
	v_cmp_eq_u32_e32 vcc, s6, v6
	v_cndmask_b32_e32 v2, v3, v2, vcc
	v_lshrrev_b32_e32 v3, 16, v1
	s_mov_b32 s6, 0x8000
	v_and_or_b32 v2, v3, s6, v2
	global_store_short v[4:5], v2, off
.LBB8_408:
	s_mov_b64 s[6:7], 0
.LBB8_409:
	s_andn2_b64 vcc, exec, s[6:7]
	s_cbranch_vccnz .LBB8_425
; %bb.410:
	s_cmp_lt_i32 s8, 2
	s_mov_b64 s[6:7], -1
	s_cbranch_scc1 .LBB8_420
; %bb.411:
	s_cmp_lt_i32 s8, 3
	s_cbranch_scc1 .LBB8_417
; %bb.412:
	s_cmp_gt_i32 s8, 3
	s_cbranch_scc0 .LBB8_414
; %bb.413:
	v_trunc_f64_e32 v[2:3], v[0:1]
	s_movk_i32 s6, 0xffe0
	v_ldexp_f64 v[6:7], v[2:3], s6
	s_mov_b32 s6, 0
	s_mov_b32 s7, 0xc1f00000
	v_floor_f64_e32 v[6:7], v[6:7]
	v_fma_f64 v[2:3], v[6:7], s[6:7], v[2:3]
	v_cvt_i32_f64_e32 v7, v[6:7]
	s_mov_b64 s[6:7], 0
	v_cvt_u32_f64_e32 v6, v[2:3]
	global_store_dwordx2 v[4:5], v[6:7], off
.LBB8_414:
	s_andn2_b64 vcc, exec, s[6:7]
	s_cbranch_vccnz .LBB8_416
; %bb.415:
	v_cvt_i32_f64_e32 v2, v[0:1]
	global_store_dword v[4:5], v2, off
.LBB8_416:
	s_mov_b64 s[6:7], 0
.LBB8_417:
	s_andn2_b64 vcc, exec, s[6:7]
	s_cbranch_vccnz .LBB8_419
; %bb.418:
	v_cvt_i32_f64_e32 v2, v[0:1]
	global_store_short v[4:5], v2, off
.LBB8_419:
	s_mov_b64 s[6:7], 0
.LBB8_420:
	s_andn2_b64 vcc, exec, s[6:7]
	s_cbranch_vccnz .LBB8_425
; %bb.421:
	s_cmp_gt_i32 s8, 0
	s_mov_b64 s[6:7], -1
	s_cbranch_scc0 .LBB8_423
; %bb.422:
	v_cvt_i32_f64_e32 v2, v[0:1]
	s_mov_b64 s[6:7], 0
	global_store_byte v[4:5], v2, off
.LBB8_423:
	s_andn2_b64 vcc, exec, s[6:7]
	s_cbranch_vccnz .LBB8_425
; %bb.424:
	v_trunc_f64_e32 v[0:1], v[0:1]
	s_movk_i32 s6, 0xffe0
	v_ldexp_f64 v[2:3], v[0:1], s6
	s_mov_b32 s6, 0
	s_mov_b32 s7, 0xc1f00000
	v_floor_f64_e32 v[2:3], v[2:3]
	v_fma_f64 v[0:1], v[2:3], s[6:7], v[0:1]
	v_cvt_u32_f64_e32 v0, v[0:1]
	global_store_byte v[4:5], v0, off
.LBB8_425:
	s_mov_b64 s[6:7], -1
.LBB8_426:
	s_andn2_b64 vcc, exec, s[6:7]
	s_cbranch_vccnz .LBB8_428
; %bb.427:
	v_add_u32_e32 v40, 0x80, v40
	s_mov_b64 s[6:7], -1
	s_branch .LBB8_541
.LBB8_428:
	s_mov_b64 s[6:7], 0
	s_branch .LBB8_540
.LBB8_429:
	s_mov_b64 s[74:75], -1
                                        ; implicit-def: $vgpr0_vgpr1
.LBB8_430:
	s_mov_b64 s[6:7], 0
.LBB8_431:
	s_and_b64 vcc, exec, s[6:7]
	s_cbranch_vccz .LBB8_435
; %bb.432:
	s_cmp_eq_u32 s10, 29
	s_cbranch_scc0 .LBB8_434
; %bb.433:
	global_load_dwordx2 v[0:1], v[2:3], off
	s_mov_b64 s[4:5], -1
	s_mov_b64 s[74:75], 0
	s_mov_b64 s[6:7], 0
	s_waitcnt vmcnt(0)
	v_cvt_f64_u32_e32 v[4:5], v1
	v_cvt_f64_u32_e32 v[0:1], v0
	v_ldexp_f64 v[4:5], v[4:5], 32
	v_add_f64 v[0:1], v[4:5], v[0:1]
	s_branch .LBB8_436
.LBB8_434:
	s_mov_b64 s[74:75], -1
                                        ; implicit-def: $vgpr0_vgpr1
.LBB8_435:
	s_mov_b64 s[6:7], 0
.LBB8_436:
	s_and_b64 vcc, exec, s[6:7]
	s_cbranch_vccz .LBB8_456
; %bb.437:
	s_cmp_lt_i32 s10, 27
	s_cbranch_scc1 .LBB8_440
; %bb.438:
	s_cmp_gt_i32 s10, 27
	s_cbranch_scc0 .LBB8_441
; %bb.439:
	global_load_dword v0, v[2:3], off
	s_mov_b64 s[4:5], 0
	s_waitcnt vmcnt(0)
	v_cvt_f64_u32_e32 v[0:1], v0
	s_branch .LBB8_442
.LBB8_440:
	s_mov_b64 s[4:5], -1
                                        ; implicit-def: $vgpr0_vgpr1
	s_branch .LBB8_445
.LBB8_441:
	s_mov_b64 s[4:5], -1
                                        ; implicit-def: $vgpr0_vgpr1
.LBB8_442:
	s_andn2_b64 vcc, exec, s[4:5]
	s_cbranch_vccnz .LBB8_444
; %bb.443:
	global_load_ushort v0, v[2:3], off
	s_waitcnt vmcnt(0)
	v_cvt_f64_u32_e32 v[0:1], v0
.LBB8_444:
	s_mov_b64 s[4:5], 0
.LBB8_445:
	s_andn2_b64 vcc, exec, s[4:5]
	s_cbranch_vccnz .LBB8_455
; %bb.446:
	global_load_ubyte v4, v[2:3], off
	s_movk_i32 s4, 0x7f
	s_waitcnt vmcnt(0)
	v_cmp_lt_i16_e32 vcc, s4, v4
	s_mov_b64 s[4:5], 0
	s_and_saveexec_b64 s[6:7], vcc
	s_xor_b64 s[6:7], exec, s[6:7]
	s_cbranch_execz .LBB8_450
; %bb.447:
	s_movk_i32 s4, 0x80
	v_cmp_eq_u16_e32 vcc, s4, v4
	s_mov_b64 s[4:5], -1
	s_and_saveexec_b64 s[8:9], vcc
; %bb.448:
	s_xor_b64 s[4:5], exec, -1
; %bb.449:
	s_or_b64 exec, exec, s[8:9]
	s_and_b64 s[4:5], s[4:5], exec
.LBB8_450:
	s_or_saveexec_b64 s[6:7], s[6:7]
	v_bfrev_b32_e32 v0, 4
	v_mov_b32_e32 v1, 0x7ff80000
	s_xor_b64 exec, exec, s[6:7]
; %bb.451:
	v_cmp_ne_u16_e32 vcc, 0, v4
	v_mov_b32_e32 v0, 0
	s_andn2_b64 s[4:5], s[4:5], exec
	s_and_b64 s[8:9], vcc, exec
	v_mov_b32_e32 v1, 0
	s_or_b64 s[4:5], s[4:5], s[8:9]
; %bb.452:
	s_or_b64 exec, exec, s[6:7]
	s_and_saveexec_b64 s[6:7], s[4:5]
	s_cbranch_execz .LBB8_454
; %bb.453:
	v_and_b32_e32 v1, 0xffff, v4
	v_lshlrev_b32_e32 v0, 24, v4
	v_and_b32_e32 v4, 7, v1
	v_ffbh_u32_e32 v6, v4
	v_min_u32_e32 v6, 32, v6
	v_subrev_u32_e32 v7, 28, v6
	v_bfe_u32 v5, v1, 3, 4
	v_lshlrev_b32_e32 v1, v7, v1
	v_sub_u32_e32 v6, 29, v6
	v_and_b32_e32 v1, 7, v1
	v_cmp_eq_u32_e32 vcc, 0, v5
	v_cndmask_b32_e32 v5, v5, v6, vcc
	v_cndmask_b32_e32 v1, v4, v1, vcc
	v_mov_b32_e32 v4, 0x3b800000
	v_lshlrev_b32_e32 v1, 20, v1
	v_and_b32_e32 v0, 0x80000000, v0
	v_lshl_add_u32 v4, v5, 23, v4
	v_or3_b32 v0, v0, v4, v1
	v_cvt_f64_f32_e32 v[0:1], v0
.LBB8_454:
	s_or_b64 exec, exec, s[6:7]
.LBB8_455:
	s_mov_b64 s[4:5], -1
.LBB8_456:
	s_mov_b64 s[6:7], 0
.LBB8_457:
	s_and_b64 vcc, exec, s[6:7]
	s_cbranch_vccz .LBB8_490
; %bb.458:
	s_cmp_gt_i32 s10, 22
	s_cbranch_scc0 .LBB8_470
; %bb.459:
	s_cmp_lt_i32 s10, 24
	s_cbranch_scc1 .LBB8_471
; %bb.460:
	s_cmp_gt_i32 s10, 24
	s_cbranch_scc0 .LBB8_472
; %bb.461:
	global_load_ubyte v4, v[2:3], off
	s_movk_i32 s4, 0x7f
	s_waitcnt vmcnt(0)
	v_cmp_lt_i16_e32 vcc, s4, v4
	s_mov_b64 s[4:5], 0
	s_and_saveexec_b64 s[6:7], vcc
	s_xor_b64 s[6:7], exec, s[6:7]
	s_cbranch_execz .LBB8_465
; %bb.462:
	s_movk_i32 s4, 0x80
	v_cmp_eq_u16_e32 vcc, s4, v4
	s_mov_b64 s[4:5], -1
	s_and_saveexec_b64 s[8:9], vcc
; %bb.463:
	s_xor_b64 s[4:5], exec, -1
; %bb.464:
	s_or_b64 exec, exec, s[8:9]
	s_and_b64 s[4:5], s[4:5], exec
.LBB8_465:
	s_or_saveexec_b64 s[6:7], s[6:7]
	v_bfrev_b32_e32 v0, 4
	v_mov_b32_e32 v1, 0x7ff80000
	s_xor_b64 exec, exec, s[6:7]
; %bb.466:
	v_cmp_ne_u16_e32 vcc, 0, v4
	v_mov_b32_e32 v0, 0
	s_andn2_b64 s[4:5], s[4:5], exec
	s_and_b64 s[8:9], vcc, exec
	v_mov_b32_e32 v1, 0
	s_or_b64 s[4:5], s[4:5], s[8:9]
; %bb.467:
	s_or_b64 exec, exec, s[6:7]
	s_and_saveexec_b64 s[6:7], s[4:5]
	s_cbranch_execz .LBB8_469
; %bb.468:
	v_and_b32_e32 v1, 0xffff, v4
	v_lshlrev_b32_e32 v0, 24, v4
	v_and_b32_e32 v4, 3, v1
	v_ffbh_u32_e32 v6, v4
	v_min_u32_e32 v6, 32, v6
	v_subrev_u32_e32 v7, 29, v6
	v_bfe_u32 v5, v1, 2, 5
	v_lshlrev_b32_e32 v1, v7, v1
	v_sub_u32_e32 v6, 30, v6
	v_and_b32_e32 v1, 3, v1
	v_cmp_eq_u32_e32 vcc, 0, v5
	v_cndmask_b32_e32 v5, v5, v6, vcc
	v_cndmask_b32_e32 v1, v4, v1, vcc
	v_mov_b32_e32 v4, 0x37800000
	v_lshlrev_b32_e32 v1, 21, v1
	v_and_b32_e32 v0, 0x80000000, v0
	v_lshl_add_u32 v4, v5, 23, v4
	v_or3_b32 v0, v0, v4, v1
	v_cvt_f64_f32_e32 v[0:1], v0
.LBB8_469:
	s_or_b64 exec, exec, s[6:7]
	s_mov_b64 s[4:5], 0
	s_branch .LBB8_473
.LBB8_470:
	s_mov_b64 s[6:7], -1
                                        ; implicit-def: $vgpr0_vgpr1
	s_branch .LBB8_479
.LBB8_471:
	s_mov_b64 s[4:5], -1
                                        ; implicit-def: $vgpr0_vgpr1
	s_branch .LBB8_476
.LBB8_472:
	s_mov_b64 s[4:5], -1
                                        ; implicit-def: $vgpr0_vgpr1
.LBB8_473:
	s_and_b64 vcc, exec, s[4:5]
	s_cbranch_vccz .LBB8_475
; %bb.474:
	global_load_ubyte v0, v[2:3], off
	s_mov_b32 s4, 0x7f800000
	s_waitcnt vmcnt(0)
	v_lshlrev_b32_e32 v0, 24, v0
	v_and_b32_e32 v1, 0x7f000000, v0
	v_ffbh_u32_e32 v4, v1
	v_min_u32_e32 v4, 32, v4
	v_sub_u32_e64 v4, v4, 4 clamp
	v_lshlrev_b32_e32 v6, v4, v1
	v_lshlrev_b32_e32 v4, 23, v4
	v_lshrrev_b32_e32 v6, 4, v6
	v_add_u32_e32 v5, 0x1000000, v1
	v_sub_u32_e32 v4, v6, v4
	v_ashrrev_i32_e32 v5, 8, v5
	v_add_u32_e32 v4, 0x3c000000, v4
	v_and_or_b32 v4, v5, s4, v4
	v_cmp_ne_u32_e32 vcc, 0, v1
	v_cndmask_b32_e32 v1, 0, v4, vcc
	s_brev_b32 s4, 1
	v_and_or_b32 v0, v0, s4, v1
	v_cvt_f64_f32_e32 v[0:1], v0
.LBB8_475:
	s_mov_b64 s[4:5], 0
.LBB8_476:
	s_andn2_b64 vcc, exec, s[4:5]
	s_cbranch_vccnz .LBB8_478
; %bb.477:
	global_load_ubyte v0, v[2:3], off
	s_movk_i32 s4, 0x7f00
	s_brev_b32 s5, 16
	s_waitcnt vmcnt(0)
	v_lshlrev_b16_e32 v1, 8, v0
	v_lshlrev_b32_e32 v0, 25, v0
	v_lshrrev_b32_e32 v4, 4, v0
	v_and_or_b32 v5, v1, s4, 0.5
	v_or_b32_e32 v4, 0x70000000, v4
	v_add_f32_e32 v5, -0.5, v5
	v_mul_f32_e32 v4, 0x7800000, v4
	v_cmp_gt_u32_e32 vcc, s5, v0
	v_bfe_i32 v1, v1, 0, 16
	v_cndmask_b32_e32 v0, v4, v5, vcc
	s_brev_b32 s4, 1
	v_and_or_b32 v0, v1, s4, v0
	v_cvt_f64_f32_e32 v[0:1], v0
.LBB8_478:
	s_mov_b64 s[6:7], 0
	s_mov_b64 s[4:5], -1
.LBB8_479:
	s_andn2_b64 vcc, exec, s[6:7]
	s_cbranch_vccnz .LBB8_490
; %bb.480:
	s_cmp_gt_i32 s10, 14
	s_cbranch_scc0 .LBB8_483
; %bb.481:
	s_cmp_eq_u32 s10, 15
	s_cbranch_scc0 .LBB8_484
; %bb.482:
	global_load_ushort v0, v[2:3], off
	s_mov_b64 s[4:5], -1
	s_mov_b64 s[74:75], 0
	s_waitcnt vmcnt(0)
	v_lshlrev_b32_e32 v0, 16, v0
	v_cvt_f64_f32_e32 v[0:1], v0
	s_branch .LBB8_485
.LBB8_483:
	s_mov_b64 s[6:7], -1
                                        ; implicit-def: $vgpr0_vgpr1
	s_branch .LBB8_486
.LBB8_484:
	s_mov_b64 s[74:75], -1
                                        ; implicit-def: $vgpr0_vgpr1
.LBB8_485:
	s_mov_b64 s[6:7], 0
.LBB8_486:
	s_and_b64 vcc, exec, s[6:7]
	s_cbranch_vccz .LBB8_490
; %bb.487:
	s_cmp_eq_u32 s10, 11
	s_cbranch_scc0 .LBB8_489
; %bb.488:
	global_load_ubyte v1, v[2:3], off
	v_mov_b32_e32 v4, 0x3ff00000
	v_mov_b32_e32 v0, 0
	s_mov_b64 s[4:5], -1
	s_mov_b64 s[74:75], 0
	s_waitcnt vmcnt(0)
	v_cmp_ne_u16_e32 vcc, 0, v1
	v_cndmask_b32_e32 v1, 0, v4, vcc
	s_branch .LBB8_490
.LBB8_489:
	s_mov_b64 s[74:75], -1
                                        ; implicit-def: $vgpr0_vgpr1
.LBB8_490:
	s_branch .LBB8_293
.LBB8_491:
	s_cmp_lt_i32 s10, 5
	s_cbranch_scc1 .LBB8_496
; %bb.492:
	s_cmp_lt_i32 s10, 8
	s_cbranch_scc1 .LBB8_497
; %bb.493:
	;; [unrolled: 3-line block ×3, first 2 shown]
	s_cmp_gt_i32 s10, 9
	s_cbranch_scc0 .LBB8_499
; %bb.495:
	global_load_dwordx2 v[0:1], v[2:3], off
	s_mov_b64 s[4:5], 0
	s_branch .LBB8_500
.LBB8_496:
	s_mov_b64 s[4:5], -1
                                        ; implicit-def: $vgpr0_vgpr1
	s_branch .LBB8_518
.LBB8_497:
	s_mov_b64 s[4:5], -1
                                        ; implicit-def: $vgpr0_vgpr1
	s_branch .LBB8_506
.LBB8_498:
	s_mov_b64 s[4:5], -1
                                        ; implicit-def: $vgpr0_vgpr1
	s_branch .LBB8_503
.LBB8_499:
	s_mov_b64 s[4:5], -1
                                        ; implicit-def: $vgpr0_vgpr1
.LBB8_500:
	s_andn2_b64 vcc, exec, s[4:5]
	s_cbranch_vccnz .LBB8_502
; %bb.501:
	global_load_dword v0, v[2:3], off
	s_waitcnt vmcnt(0)
	v_cvt_f64_f32_e32 v[0:1], v0
.LBB8_502:
	s_mov_b64 s[4:5], 0
.LBB8_503:
	s_andn2_b64 vcc, exec, s[4:5]
	s_cbranch_vccnz .LBB8_505
; %bb.504:
	global_load_dword v0, v[2:3], off
	s_waitcnt vmcnt(0)
	v_cvt_f32_f16_e32 v0, v0
	v_cvt_f64_f32_e32 v[0:1], v0
.LBB8_505:
	s_mov_b64 s[4:5], 0
.LBB8_506:
	s_andn2_b64 vcc, exec, s[4:5]
	s_cbranch_vccnz .LBB8_517
; %bb.507:
	s_cmp_lt_i32 s10, 6
	s_cbranch_scc1 .LBB8_510
; %bb.508:
	s_cmp_gt_i32 s10, 6
	s_cbranch_scc0 .LBB8_511
; %bb.509:
	global_load_dwordx2 v[0:1], v[2:3], off
	s_mov_b64 s[4:5], 0
	s_branch .LBB8_512
.LBB8_510:
	s_mov_b64 s[4:5], -1
                                        ; implicit-def: $vgpr0_vgpr1
	s_branch .LBB8_515
.LBB8_511:
	s_mov_b64 s[4:5], -1
                                        ; implicit-def: $vgpr0_vgpr1
.LBB8_512:
	s_andn2_b64 vcc, exec, s[4:5]
	s_cbranch_vccnz .LBB8_514
; %bb.513:
	global_load_dword v0, v[2:3], off
	s_waitcnt vmcnt(0)
	v_cvt_f64_f32_e32 v[0:1], v0
.LBB8_514:
	s_mov_b64 s[4:5], 0
.LBB8_515:
	s_andn2_b64 vcc, exec, s[4:5]
	s_cbranch_vccnz .LBB8_517
; %bb.516:
	global_load_ushort v0, v[2:3], off
	s_waitcnt vmcnt(0)
	v_cvt_f32_f16_e32 v0, v0
	v_cvt_f64_f32_e32 v[0:1], v0
.LBB8_517:
	s_mov_b64 s[4:5], 0
.LBB8_518:
	s_andn2_b64 vcc, exec, s[4:5]
	s_cbranch_vccnz .LBB8_538
; %bb.519:
	s_cmp_lt_i32 s10, 2
	s_cbranch_scc1 .LBB8_523
; %bb.520:
	s_cmp_lt_i32 s10, 3
	s_cbranch_scc1 .LBB8_524
; %bb.521:
	s_cmp_gt_i32 s10, 3
	s_cbranch_scc0 .LBB8_525
; %bb.522:
	global_load_dwordx2 v[0:1], v[2:3], off
	s_mov_b64 s[4:5], 0
	s_waitcnt vmcnt(0)
	v_cvt_f64_i32_e32 v[4:5], v1
	v_cvt_f64_u32_e32 v[0:1], v0
	v_ldexp_f64 v[4:5], v[4:5], 32
	v_add_f64 v[0:1], v[4:5], v[0:1]
	s_branch .LBB8_526
.LBB8_523:
	s_mov_b64 s[4:5], -1
                                        ; implicit-def: $vgpr0_vgpr1
	s_branch .LBB8_532
.LBB8_524:
	s_mov_b64 s[4:5], -1
                                        ; implicit-def: $vgpr0_vgpr1
	s_branch .LBB8_529
.LBB8_525:
	s_mov_b64 s[4:5], -1
                                        ; implicit-def: $vgpr0_vgpr1
.LBB8_526:
	s_andn2_b64 vcc, exec, s[4:5]
	s_cbranch_vccnz .LBB8_528
; %bb.527:
	global_load_dword v0, v[2:3], off
	s_waitcnt vmcnt(0)
	v_cvt_f64_i32_e32 v[0:1], v0
.LBB8_528:
	s_mov_b64 s[4:5], 0
.LBB8_529:
	s_andn2_b64 vcc, exec, s[4:5]
	s_cbranch_vccnz .LBB8_531
; %bb.530:
	global_load_sshort v0, v[2:3], off
	s_waitcnt vmcnt(0)
	v_cvt_f64_i32_e32 v[0:1], v0
.LBB8_531:
	s_mov_b64 s[4:5], 0
.LBB8_532:
	s_andn2_b64 vcc, exec, s[4:5]
	s_cbranch_vccnz .LBB8_538
; %bb.533:
	s_cmp_gt_i32 s10, 0
	s_cbranch_scc0 .LBB8_535
; %bb.534:
	global_load_sbyte v0, v[2:3], off
	s_mov_b64 s[4:5], 0
	s_waitcnt vmcnt(0)
	v_cvt_f64_i32_e32 v[0:1], v0
	s_branch .LBB8_536
.LBB8_535:
	s_mov_b64 s[4:5], -1
                                        ; implicit-def: $vgpr0_vgpr1
.LBB8_536:
	s_andn2_b64 vcc, exec, s[4:5]
	s_cbranch_vccnz .LBB8_538
; %bb.537:
	global_load_ubyte v0, v[2:3], off
	s_waitcnt vmcnt(0)
	v_cvt_f64_u32_e32 v[0:1], v0
.LBB8_538:
	s_branch .LBB8_294
.LBB8_539:
	s_mov_b64 s[6:7], 0
	s_mov_b64 s[4:5], s[68:69]
.LBB8_540:
                                        ; implicit-def: $vgpr40
.LBB8_541:
	s_andn2_b64 s[8:9], s[68:69], exec
	s_and_b64 s[4:5], s[4:5], exec
	s_or_b64 s[76:77], s[8:9], s[4:5]
	s_andn2_b64 s[4:5], s[70:71], exec
	s_and_b64 s[8:9], s[74:75], exec
	s_or_b64 s[74:75], s[4:5], s[8:9]
	s_orn2_b64 s[4:5], s[6:7], exec
.LBB8_542:
	s_or_b64 exec, exec, s[78:79]
	s_mov_b64 s[6:7], 0
	s_mov_b64 s[8:9], 0
	;; [unrolled: 1-line block ×3, first 2 shown]
                                        ; implicit-def: $vgpr0_vgpr1
                                        ; implicit-def: $vgpr38
                                        ; implicit-def: $vgpr2_vgpr3
	s_and_saveexec_b64 s[78:79], s[4:5]
	s_cbranch_execz .LBB8_917
; %bb.543:
	v_cmp_gt_i32_e32 vcc, s87, v40
	s_mov_b64 s[6:7], -1
	s_mov_b64 s[24:25], s[74:75]
	s_mov_b64 s[26:27], s[76:77]
	s_and_saveexec_b64 s[80:81], vcc
	s_cbranch_execz .LBB8_817
; %bb.544:
	s_andn2_b64 vcc, exec, s[56:57]
	s_cbranch_vccnz .LBB8_549
; %bb.545:
	s_andn2_b64 vcc, exec, s[66:67]
	s_cbranch_vccnz .LBB8_550
; %bb.546:
	s_add_i32 s29, s88, 1
	s_cmp_eq_u32 s84, 2
	s_cbranch_scc1 .LBB8_551
; %bb.547:
	s_and_b32 s28, s29, 28
	s_waitcnt vmcnt(0)
	v_mov_b32_e32 v0, 0
	s_mov_b32 s30, 0
	s_mov_b64 s[24:25], s[52:53]
	s_mov_b64 s[26:27], s[64:65]
	v_mov_b32_e32 v38, 0
	v_mov_b32_e32 v1, v40
.LBB8_548:                              ; =>This Inner Loop Header: Depth=1
	s_load_dwordx8 s[12:19], s[24:25], 0x4
	s_load_dwordx4 s[20:23], s[24:25], 0x24
	s_load_dwordx8 s[4:11], s[26:27], 0x0
	s_add_u32 s24, s24, 48
	s_addc_u32 s25, s25, 0
	s_waitcnt lgkmcnt(0)
	v_mul_hi_u32 v2, s13, v1
	s_add_i32 s30, s30, 4
	s_add_u32 s26, s26, 32
	s_addc_u32 s27, s27, 0
	v_add_u32_e32 v2, v1, v2
	v_lshrrev_b32_e32 v2, s14, v2
	v_mul_lo_u32 v3, v2, s12
	v_mul_hi_u32 v4, s16, v2
	s_cmp_eq_u32 s28, s30
	v_sub_u32_e32 v1, v1, v3
	v_add_u32_e32 v3, v2, v4
	v_mul_lo_u32 v4, v1, s4
	v_mul_lo_u32 v5, v1, s5
	v_lshrrev_b32_e32 v1, s17, v3
	v_mul_lo_u32 v3, v1, s15
	v_mul_hi_u32 v6, s19, v1
	v_sub_u32_e32 v2, v2, v3
	v_add_u32_e32 v3, v1, v6
	v_lshrrev_b32_e32 v3, s20, v3
	v_mul_hi_u32 v7, s22, v3
	v_mul_lo_u32 v8, v3, s18
	v_mul_lo_u32 v6, v2, s6
	;; [unrolled: 1-line block ×3, first 2 shown]
	v_sub_u32_e32 v8, v1, v8
	v_add_u32_e32 v1, v3, v7
	v_lshrrev_b32_e32 v1, s23, v1
	v_mul_lo_u32 v7, v1, s21
	v_mul_lo_u32 v9, v8, s8
	;; [unrolled: 1-line block ×3, first 2 shown]
	v_add3_u32 v4, v4, v38, v6
	v_sub_u32_e32 v3, v3, v7
	v_mul_lo_u32 v7, v3, s10
	v_mul_lo_u32 v3, v3, s11
	v_add3_u32 v0, v5, v0, v2
	v_add3_u32 v38, v9, v4, v7
	;; [unrolled: 1-line block ×3, first 2 shown]
	s_cbranch_scc0 .LBB8_548
	s_branch .LBB8_552
.LBB8_549:
	s_mov_b64 s[4:5], -1
                                        ; implicit-def: $vgpr38
                                        ; implicit-def: $vgpr0
	s_branch .LBB8_556
.LBB8_550:
	v_mov_b32_e32 v38, 0
	s_waitcnt vmcnt(0)
	v_mov_b32_e32 v0, 0
	s_branch .LBB8_555
.LBB8_551:
	s_mov_b32 s28, 0
	v_mov_b32_e32 v38, 0
	s_waitcnt vmcnt(0)
	v_mov_b32_e32 v0, 0
	v_mov_b32_e32 v1, v40
.LBB8_552:
	s_and_b32 s8, s29, 3
	s_cmp_eq_u32 s8, 0
	s_cbranch_scc1 .LBB8_555
; %bb.553:
	s_lshl_b32 s4, s28, 3
	s_add_u32 s4, s52, s4
	s_addc_u32 s5, s53, 0
	s_add_u32 s4, s4, 0xc4
	s_addc_u32 s5, s5, 0
	s_mul_i32 s6, s28, 12
	s_add_u32 s6, s52, s6
	s_addc_u32 s7, s53, 0
.LBB8_554:                              ; =>This Inner Loop Header: Depth=1
	s_load_dwordx2 s[10:11], s[6:7], 0x4
	s_load_dword s9, s[6:7], 0xc
	s_load_dwordx2 s[12:13], s[4:5], 0x0
	s_add_u32 s6, s6, 12
	s_addc_u32 s7, s7, 0
	s_waitcnt lgkmcnt(0)
	v_mul_hi_u32 v2, s11, v1
	s_add_u32 s4, s4, 8
	s_addc_u32 s5, s5, 0
	s_add_i32 s8, s8, -1
	v_add_u32_e32 v2, v1, v2
	v_lshrrev_b32_e32 v2, s9, v2
	v_mul_lo_u32 v3, v2, s10
	s_cmp_lg_u32 s8, 0
	v_sub_u32_e32 v1, v1, v3
	v_mad_u64_u32 v[38:39], s[10:11], v1, s12, v[38:39]
	v_mad_u64_u32 v[0:1], s[10:11], v1, s13, v[0:1]
	v_mov_b32_e32 v1, v2
	s_cbranch_scc1 .LBB8_554
.LBB8_555:
	s_mov_b64 s[4:5], 0
.LBB8_556:
	s_andn2_b64 vcc, exec, s[4:5]
	s_cbranch_vccnz .LBB8_559
; %bb.557:
	s_waitcnt vmcnt(0) lgkmcnt(0)
	v_mul_hi_u32 v0, s49, v40
	s_andn2_b64 vcc, exec, s[62:63]
	v_add_u32_e32 v0, v40, v0
	v_lshrrev_b32_e32 v1, s50, v0
	v_mul_lo_u32 v0, v1, s48
	v_sub_u32_e32 v0, v40, v0
	v_mul_lo_u32 v38, v0, s44
	v_mul_lo_u32 v0, v0, s45
	s_cbranch_vccnz .LBB8_559
; %bb.558:
	v_mul_hi_u32 v2, s60, v1
	v_add_u32_e32 v2, v1, v2
	v_lshrrev_b32_e32 v2, s61, v2
	v_mul_lo_u32 v2, v2, s51
	v_sub_u32_e32 v1, v1, v2
	v_mad_u64_u32 v[38:39], s[4:5], v1, s46, v[38:39]
	v_mad_u64_u32 v[0:1], s[4:5], v1, s47, v[0:1]
.LBB8_559:
	s_waitcnt vmcnt(0) lgkmcnt(0)
	v_mov_b32_e32 v1, s39
	s_and_b32 s10, 0xffff, s86
	v_add_co_u32_e32 v2, vcc, s38, v0
	s_cmp_lt_i32 s10, 11
	v_addc_co_u32_e32 v3, vcc, 0, v1, vcc
	s_cbranch_scc1 .LBB8_566
; %bb.560:
	s_cmp_gt_i32 s10, 25
	s_cbranch_scc0 .LBB8_567
; %bb.561:
	s_cmp_gt_i32 s10, 28
	s_cbranch_scc0 .LBB8_568
	;; [unrolled: 3-line block ×4, first 2 shown]
; %bb.564:
	s_cmp_eq_u32 s10, 46
	s_mov_b64 s[6:7], 0
	s_cbranch_scc0 .LBB8_575
; %bb.565:
	global_load_dword v0, v[2:3], off
	s_mov_b64 s[4:5], -1
	s_mov_b64 s[82:83], 0
	s_waitcnt vmcnt(0)
	v_lshlrev_b32_e32 v0, 16, v0
	v_cvt_f64_f32_e32 v[0:1], v0
	s_branch .LBB8_576
.LBB8_566:
	s_mov_b64 s[6:7], -1
	s_mov_b64 s[4:5], 0
                                        ; implicit-def: $vgpr0_vgpr1
	s_mov_b64 s[82:83], s[74:75]
	s_branch .LBB8_641
.LBB8_567:
	s_mov_b64 s[6:7], -1
	s_mov_b64 s[4:5], 0
	s_mov_b64 s[82:83], s[74:75]
                                        ; implicit-def: $vgpr0_vgpr1
	s_branch .LBB8_607
.LBB8_568:
	s_mov_b64 s[6:7], -1
	s_mov_b64 s[4:5], 0
	s_mov_b64 s[82:83], s[74:75]
                                        ; implicit-def: $vgpr0_vgpr1
	s_branch .LBB8_586
.LBB8_569:
	s_mov_b64 s[6:7], -1
	s_mov_b64 s[4:5], 0
	s_mov_b64 s[82:83], s[74:75]
                                        ; implicit-def: $vgpr0_vgpr1
	s_branch .LBB8_581
.LBB8_570:
	s_andn2_saveexec_b64 s[10:11], s[10:11]
	s_cbranch_execz .LBB8_339
.LBB8_571:
	s_mov_b32 s14, 0x46000000
	v_add_f32_e64 v3, |v2|, s14
	v_and_b32_e32 v3, 0xff, v3
	v_cmp_ne_u32_e32 vcc, 0, v3
	s_andn2_b64 s[8:9], s[8:9], exec
	s_and_b64 s[14:15], vcc, exec
	s_or_b64 s[8:9], s[8:9], s[14:15]
	s_or_b64 exec, exec, s[10:11]
	v_mov_b32_e32 v6, 0
	s_and_saveexec_b64 s[10:11], s[8:9]
	s_cbranch_execnz .LBB8_340
	s_branch .LBB8_341
.LBB8_572:
	s_mov_b64 s[6:7], -1
	s_mov_b64 s[4:5], 0
	s_mov_b64 s[82:83], s[74:75]
                                        ; implicit-def: $vgpr0_vgpr1
	s_branch .LBB8_576
.LBB8_573:
	s_andn2_saveexec_b64 s[10:11], s[10:11]
	s_cbranch_execz .LBB8_352
.LBB8_574:
	s_mov_b32 s14, 0x42800000
	v_add_f32_e64 v3, |v2|, s14
	v_and_b32_e32 v3, 0xff, v3
	v_cmp_ne_u32_e32 vcc, 0, v3
	s_andn2_b64 s[8:9], s[8:9], exec
	s_and_b64 s[14:15], vcc, exec
	s_or_b64 s[8:9], s[8:9], s[14:15]
	s_or_b64 exec, exec, s[10:11]
	v_mov_b32_e32 v6, 0
	s_and_saveexec_b64 s[10:11], s[8:9]
	s_cbranch_execnz .LBB8_353
	s_branch .LBB8_354
.LBB8_575:
	s_mov_b64 s[82:83], -1
                                        ; implicit-def: $vgpr0_vgpr1
	s_mov_b64 s[4:5], 0
.LBB8_576:
	s_and_b64 vcc, exec, s[6:7]
	s_cbranch_vccz .LBB8_580
; %bb.577:
	s_cmp_eq_u32 s10, 44
	s_cbranch_scc0 .LBB8_579
; %bb.578:
	global_load_ubyte v4, v[2:3], off
	s_movk_i32 s6, 0xff
	v_bfrev_b32_e32 v5, 4
	v_mov_b32_e32 v6, 0x7ff80000
	v_bfrev_b32_e32 v7, 28
	s_mov_b64 s[4:5], -1
	s_mov_b64 s[82:83], 0
	s_waitcnt vmcnt(0)
	v_lshlrev_b32_e32 v0, 23, v4
	v_cvt_f64_f32_e32 v[0:1], v0
	v_cmp_ne_u32_e32 vcc, s6, v4
	v_cndmask_b32_e32 v0, v5, v0, vcc
	v_cndmask_b32_e32 v1, v6, v1, vcc
	v_cmp_ne_u32_e32 vcc, 0, v4
	v_cndmask_b32_e32 v1, v7, v1, vcc
	v_cndmask_b32_e32 v0, 0, v0, vcc
	s_branch .LBB8_580
.LBB8_579:
	s_mov_b64 s[82:83], -1
                                        ; implicit-def: $vgpr0_vgpr1
.LBB8_580:
	s_mov_b64 s[6:7], 0
.LBB8_581:
	s_and_b64 vcc, exec, s[6:7]
	s_cbranch_vccz .LBB8_585
; %bb.582:
	s_cmp_eq_u32 s10, 29
	s_cbranch_scc0 .LBB8_584
; %bb.583:
	global_load_dwordx2 v[0:1], v[2:3], off
	s_mov_b64 s[4:5], -1
	s_mov_b64 s[82:83], 0
	s_mov_b64 s[6:7], 0
	s_waitcnt vmcnt(0)
	v_cvt_f64_u32_e32 v[4:5], v1
	v_cvt_f64_u32_e32 v[0:1], v0
	v_ldexp_f64 v[4:5], v[4:5], 32
	v_add_f64 v[0:1], v[4:5], v[0:1]
	s_branch .LBB8_586
.LBB8_584:
	s_mov_b64 s[82:83], -1
                                        ; implicit-def: $vgpr0_vgpr1
.LBB8_585:
	s_mov_b64 s[6:7], 0
.LBB8_586:
	s_and_b64 vcc, exec, s[6:7]
	s_cbranch_vccz .LBB8_606
; %bb.587:
	s_cmp_lt_i32 s10, 27
	s_cbranch_scc1 .LBB8_590
; %bb.588:
	s_cmp_gt_i32 s10, 27
	s_cbranch_scc0 .LBB8_591
; %bb.589:
	global_load_dword v0, v[2:3], off
	s_mov_b64 s[4:5], 0
	s_waitcnt vmcnt(0)
	v_cvt_f64_u32_e32 v[0:1], v0
	s_branch .LBB8_592
.LBB8_590:
	s_mov_b64 s[4:5], -1
                                        ; implicit-def: $vgpr0_vgpr1
	s_branch .LBB8_595
.LBB8_591:
	s_mov_b64 s[4:5], -1
                                        ; implicit-def: $vgpr0_vgpr1
.LBB8_592:
	s_andn2_b64 vcc, exec, s[4:5]
	s_cbranch_vccnz .LBB8_594
; %bb.593:
	global_load_ushort v0, v[2:3], off
	s_waitcnt vmcnt(0)
	v_cvt_f64_u32_e32 v[0:1], v0
.LBB8_594:
	s_mov_b64 s[4:5], 0
.LBB8_595:
	s_andn2_b64 vcc, exec, s[4:5]
	s_cbranch_vccnz .LBB8_605
; %bb.596:
	global_load_ubyte v4, v[2:3], off
	s_movk_i32 s4, 0x7f
	s_waitcnt vmcnt(0)
	v_cmp_lt_i16_e32 vcc, s4, v4
	s_mov_b64 s[4:5], 0
	s_and_saveexec_b64 s[6:7], vcc
	s_xor_b64 s[6:7], exec, s[6:7]
	s_cbranch_execz .LBB8_600
; %bb.597:
	s_movk_i32 s4, 0x80
	v_cmp_eq_u16_e32 vcc, s4, v4
	s_mov_b64 s[4:5], -1
	s_and_saveexec_b64 s[8:9], vcc
; %bb.598:
	s_xor_b64 s[4:5], exec, -1
; %bb.599:
	s_or_b64 exec, exec, s[8:9]
	s_and_b64 s[4:5], s[4:5], exec
.LBB8_600:
	s_or_saveexec_b64 s[6:7], s[6:7]
	v_bfrev_b32_e32 v0, 4
	v_mov_b32_e32 v1, 0x7ff80000
	s_xor_b64 exec, exec, s[6:7]
; %bb.601:
	v_cmp_ne_u16_e32 vcc, 0, v4
	v_mov_b32_e32 v0, 0
	s_andn2_b64 s[4:5], s[4:5], exec
	s_and_b64 s[8:9], vcc, exec
	v_mov_b32_e32 v1, 0
	s_or_b64 s[4:5], s[4:5], s[8:9]
; %bb.602:
	s_or_b64 exec, exec, s[6:7]
	s_and_saveexec_b64 s[6:7], s[4:5]
	s_cbranch_execz .LBB8_604
; %bb.603:
	v_and_b32_e32 v1, 0xffff, v4
	v_lshlrev_b32_e32 v0, 24, v4
	v_and_b32_e32 v4, 7, v1
	v_ffbh_u32_e32 v6, v4
	v_min_u32_e32 v6, 32, v6
	v_subrev_u32_e32 v7, 28, v6
	v_bfe_u32 v5, v1, 3, 4
	v_lshlrev_b32_e32 v1, v7, v1
	v_sub_u32_e32 v6, 29, v6
	v_and_b32_e32 v1, 7, v1
	v_cmp_eq_u32_e32 vcc, 0, v5
	v_cndmask_b32_e32 v5, v5, v6, vcc
	v_cndmask_b32_e32 v1, v4, v1, vcc
	v_mov_b32_e32 v4, 0x3b800000
	v_lshlrev_b32_e32 v1, 20, v1
	v_and_b32_e32 v0, 0x80000000, v0
	v_lshl_add_u32 v4, v5, 23, v4
	v_or3_b32 v0, v0, v4, v1
	v_cvt_f64_f32_e32 v[0:1], v0
.LBB8_604:
	s_or_b64 exec, exec, s[6:7]
.LBB8_605:
	s_mov_b64 s[4:5], -1
.LBB8_606:
	s_mov_b64 s[6:7], 0
.LBB8_607:
	s_and_b64 vcc, exec, s[6:7]
	s_cbranch_vccz .LBB8_640
; %bb.608:
	s_cmp_gt_i32 s10, 22
	s_cbranch_scc0 .LBB8_620
; %bb.609:
	s_cmp_lt_i32 s10, 24
	s_cbranch_scc1 .LBB8_621
; %bb.610:
	s_cmp_gt_i32 s10, 24
	s_cbranch_scc0 .LBB8_622
; %bb.611:
	global_load_ubyte v4, v[2:3], off
	s_movk_i32 s4, 0x7f
	s_waitcnt vmcnt(0)
	v_cmp_lt_i16_e32 vcc, s4, v4
	s_mov_b64 s[4:5], 0
	s_and_saveexec_b64 s[6:7], vcc
	s_xor_b64 s[6:7], exec, s[6:7]
	s_cbranch_execz .LBB8_615
; %bb.612:
	s_movk_i32 s4, 0x80
	v_cmp_eq_u16_e32 vcc, s4, v4
	s_mov_b64 s[4:5], -1
	s_and_saveexec_b64 s[8:9], vcc
; %bb.613:
	s_xor_b64 s[4:5], exec, -1
; %bb.614:
	s_or_b64 exec, exec, s[8:9]
	s_and_b64 s[4:5], s[4:5], exec
.LBB8_615:
	s_or_saveexec_b64 s[6:7], s[6:7]
	v_bfrev_b32_e32 v0, 4
	v_mov_b32_e32 v1, 0x7ff80000
	s_xor_b64 exec, exec, s[6:7]
; %bb.616:
	v_cmp_ne_u16_e32 vcc, 0, v4
	v_mov_b32_e32 v0, 0
	s_andn2_b64 s[4:5], s[4:5], exec
	s_and_b64 s[8:9], vcc, exec
	v_mov_b32_e32 v1, 0
	s_or_b64 s[4:5], s[4:5], s[8:9]
; %bb.617:
	s_or_b64 exec, exec, s[6:7]
	s_and_saveexec_b64 s[6:7], s[4:5]
	s_cbranch_execz .LBB8_619
; %bb.618:
	v_and_b32_e32 v1, 0xffff, v4
	v_lshlrev_b32_e32 v0, 24, v4
	v_and_b32_e32 v4, 3, v1
	v_ffbh_u32_e32 v6, v4
	v_min_u32_e32 v6, 32, v6
	v_subrev_u32_e32 v7, 29, v6
	v_bfe_u32 v5, v1, 2, 5
	v_lshlrev_b32_e32 v1, v7, v1
	v_sub_u32_e32 v6, 30, v6
	v_and_b32_e32 v1, 3, v1
	v_cmp_eq_u32_e32 vcc, 0, v5
	v_cndmask_b32_e32 v5, v5, v6, vcc
	v_cndmask_b32_e32 v1, v4, v1, vcc
	v_mov_b32_e32 v4, 0x37800000
	v_lshlrev_b32_e32 v1, 21, v1
	v_and_b32_e32 v0, 0x80000000, v0
	v_lshl_add_u32 v4, v5, 23, v4
	v_or3_b32 v0, v0, v4, v1
	v_cvt_f64_f32_e32 v[0:1], v0
.LBB8_619:
	s_or_b64 exec, exec, s[6:7]
	s_mov_b64 s[4:5], 0
	s_branch .LBB8_623
.LBB8_620:
	s_mov_b64 s[6:7], -1
                                        ; implicit-def: $vgpr0_vgpr1
	s_branch .LBB8_629
.LBB8_621:
	s_mov_b64 s[4:5], -1
                                        ; implicit-def: $vgpr0_vgpr1
	s_branch .LBB8_626
.LBB8_622:
	s_mov_b64 s[4:5], -1
                                        ; implicit-def: $vgpr0_vgpr1
.LBB8_623:
	s_and_b64 vcc, exec, s[4:5]
	s_cbranch_vccz .LBB8_625
; %bb.624:
	global_load_ubyte v0, v[2:3], off
	s_mov_b32 s4, 0x7f800000
	s_waitcnt vmcnt(0)
	v_lshlrev_b32_e32 v0, 24, v0
	v_and_b32_e32 v1, 0x7f000000, v0
	v_ffbh_u32_e32 v4, v1
	v_min_u32_e32 v4, 32, v4
	v_sub_u32_e64 v4, v4, 4 clamp
	v_lshlrev_b32_e32 v6, v4, v1
	v_lshlrev_b32_e32 v4, 23, v4
	v_lshrrev_b32_e32 v6, 4, v6
	v_add_u32_e32 v5, 0x1000000, v1
	v_sub_u32_e32 v4, v6, v4
	v_ashrrev_i32_e32 v5, 8, v5
	v_add_u32_e32 v4, 0x3c000000, v4
	v_and_or_b32 v4, v5, s4, v4
	v_cmp_ne_u32_e32 vcc, 0, v1
	v_cndmask_b32_e32 v1, 0, v4, vcc
	s_brev_b32 s4, 1
	v_and_or_b32 v0, v0, s4, v1
	v_cvt_f64_f32_e32 v[0:1], v0
.LBB8_625:
	s_mov_b64 s[4:5], 0
.LBB8_626:
	s_andn2_b64 vcc, exec, s[4:5]
	s_cbranch_vccnz .LBB8_628
; %bb.627:
	global_load_ubyte v0, v[2:3], off
	s_movk_i32 s4, 0x7f00
	s_brev_b32 s5, 16
	s_waitcnt vmcnt(0)
	v_lshlrev_b16_e32 v1, 8, v0
	v_lshlrev_b32_e32 v0, 25, v0
	v_lshrrev_b32_e32 v4, 4, v0
	v_and_or_b32 v5, v1, s4, 0.5
	v_or_b32_e32 v4, 0x70000000, v4
	v_add_f32_e32 v5, -0.5, v5
	v_mul_f32_e32 v4, 0x7800000, v4
	v_cmp_gt_u32_e32 vcc, s5, v0
	v_bfe_i32 v1, v1, 0, 16
	v_cndmask_b32_e32 v0, v4, v5, vcc
	s_brev_b32 s4, 1
	v_and_or_b32 v0, v1, s4, v0
	v_cvt_f64_f32_e32 v[0:1], v0
.LBB8_628:
	s_mov_b64 s[6:7], 0
	s_mov_b64 s[4:5], -1
.LBB8_629:
	s_andn2_b64 vcc, exec, s[6:7]
	s_cbranch_vccnz .LBB8_640
; %bb.630:
	s_cmp_gt_i32 s10, 14
	s_cbranch_scc0 .LBB8_633
; %bb.631:
	s_cmp_eq_u32 s10, 15
	s_cbranch_scc0 .LBB8_634
; %bb.632:
	global_load_ushort v0, v[2:3], off
	s_mov_b64 s[4:5], -1
	s_mov_b64 s[82:83], 0
	s_waitcnt vmcnt(0)
	v_lshlrev_b32_e32 v0, 16, v0
	v_cvt_f64_f32_e32 v[0:1], v0
	s_branch .LBB8_635
.LBB8_633:
	s_mov_b64 s[6:7], -1
                                        ; implicit-def: $vgpr0_vgpr1
	s_branch .LBB8_636
.LBB8_634:
	s_mov_b64 s[82:83], -1
                                        ; implicit-def: $vgpr0_vgpr1
.LBB8_635:
	s_mov_b64 s[6:7], 0
.LBB8_636:
	s_and_b64 vcc, exec, s[6:7]
	s_cbranch_vccz .LBB8_640
; %bb.637:
	s_cmp_eq_u32 s10, 11
	s_cbranch_scc0 .LBB8_639
; %bb.638:
	global_load_ubyte v1, v[2:3], off
	v_mov_b32_e32 v4, 0x3ff00000
	v_mov_b32_e32 v0, 0
	s_mov_b64 s[4:5], -1
	s_mov_b64 s[82:83], 0
	s_waitcnt vmcnt(0)
	v_cmp_ne_u16_e32 vcc, 0, v1
	v_cndmask_b32_e32 v1, 0, v4, vcc
	s_branch .LBB8_640
.LBB8_639:
	s_mov_b64 s[82:83], -1
                                        ; implicit-def: $vgpr0_vgpr1
.LBB8_640:
	s_mov_b64 s[6:7], 0
.LBB8_641:
	s_and_b64 vcc, exec, s[6:7]
	s_cbranch_vccz .LBB8_690
; %bb.642:
	s_cmp_lt_i32 s10, 5
	s_cbranch_scc1 .LBB8_647
; %bb.643:
	s_cmp_lt_i32 s10, 8
	s_cbranch_scc1 .LBB8_648
	;; [unrolled: 3-line block ×3, first 2 shown]
; %bb.645:
	s_cmp_gt_i32 s10, 9
	s_cbranch_scc0 .LBB8_650
; %bb.646:
	global_load_dwordx2 v[0:1], v[2:3], off
	s_mov_b64 s[4:5], 0
	s_branch .LBB8_651
.LBB8_647:
	s_mov_b64 s[4:5], -1
                                        ; implicit-def: $vgpr0_vgpr1
	s_branch .LBB8_669
.LBB8_648:
	s_mov_b64 s[4:5], -1
                                        ; implicit-def: $vgpr0_vgpr1
	s_branch .LBB8_657
.LBB8_649:
	s_mov_b64 s[4:5], -1
                                        ; implicit-def: $vgpr0_vgpr1
	s_branch .LBB8_654
.LBB8_650:
	s_mov_b64 s[4:5], -1
                                        ; implicit-def: $vgpr0_vgpr1
.LBB8_651:
	s_andn2_b64 vcc, exec, s[4:5]
	s_cbranch_vccnz .LBB8_653
; %bb.652:
	global_load_dword v0, v[2:3], off
	s_waitcnt vmcnt(0)
	v_cvt_f64_f32_e32 v[0:1], v0
.LBB8_653:
	s_mov_b64 s[4:5], 0
.LBB8_654:
	s_andn2_b64 vcc, exec, s[4:5]
	s_cbranch_vccnz .LBB8_656
; %bb.655:
	global_load_dword v0, v[2:3], off
	s_waitcnt vmcnt(0)
	v_cvt_f32_f16_e32 v0, v0
	v_cvt_f64_f32_e32 v[0:1], v0
.LBB8_656:
	s_mov_b64 s[4:5], 0
.LBB8_657:
	s_andn2_b64 vcc, exec, s[4:5]
	s_cbranch_vccnz .LBB8_668
; %bb.658:
	s_cmp_lt_i32 s10, 6
	s_cbranch_scc1 .LBB8_661
; %bb.659:
	s_cmp_gt_i32 s10, 6
	s_cbranch_scc0 .LBB8_662
; %bb.660:
	global_load_dwordx2 v[0:1], v[2:3], off
	s_mov_b64 s[4:5], 0
	s_branch .LBB8_663
.LBB8_661:
	s_mov_b64 s[4:5], -1
                                        ; implicit-def: $vgpr0_vgpr1
	s_branch .LBB8_666
.LBB8_662:
	s_mov_b64 s[4:5], -1
                                        ; implicit-def: $vgpr0_vgpr1
.LBB8_663:
	s_andn2_b64 vcc, exec, s[4:5]
	s_cbranch_vccnz .LBB8_665
; %bb.664:
	global_load_dword v0, v[2:3], off
	s_waitcnt vmcnt(0)
	v_cvt_f64_f32_e32 v[0:1], v0
.LBB8_665:
	s_mov_b64 s[4:5], 0
.LBB8_666:
	s_andn2_b64 vcc, exec, s[4:5]
	s_cbranch_vccnz .LBB8_668
; %bb.667:
	global_load_ushort v0, v[2:3], off
	s_waitcnt vmcnt(0)
	v_cvt_f32_f16_e32 v0, v0
	v_cvt_f64_f32_e32 v[0:1], v0
.LBB8_668:
	s_mov_b64 s[4:5], 0
.LBB8_669:
	s_andn2_b64 vcc, exec, s[4:5]
	s_cbranch_vccnz .LBB8_689
; %bb.670:
	s_cmp_lt_i32 s10, 2
	s_cbranch_scc1 .LBB8_674
; %bb.671:
	s_cmp_lt_i32 s10, 3
	s_cbranch_scc1 .LBB8_675
; %bb.672:
	s_cmp_gt_i32 s10, 3
	s_cbranch_scc0 .LBB8_676
; %bb.673:
	global_load_dwordx2 v[0:1], v[2:3], off
	s_mov_b64 s[4:5], 0
	s_waitcnt vmcnt(0)
	v_cvt_f64_i32_e32 v[4:5], v1
	v_cvt_f64_u32_e32 v[0:1], v0
	v_ldexp_f64 v[4:5], v[4:5], 32
	v_add_f64 v[0:1], v[4:5], v[0:1]
	s_branch .LBB8_677
.LBB8_674:
	s_mov_b64 s[4:5], -1
                                        ; implicit-def: $vgpr0_vgpr1
	s_branch .LBB8_683
.LBB8_675:
	s_mov_b64 s[4:5], -1
                                        ; implicit-def: $vgpr0_vgpr1
	s_branch .LBB8_680
.LBB8_676:
	s_mov_b64 s[4:5], -1
                                        ; implicit-def: $vgpr0_vgpr1
.LBB8_677:
	s_andn2_b64 vcc, exec, s[4:5]
	s_cbranch_vccnz .LBB8_679
; %bb.678:
	global_load_dword v0, v[2:3], off
	s_waitcnt vmcnt(0)
	v_cvt_f64_i32_e32 v[0:1], v0
.LBB8_679:
	s_mov_b64 s[4:5], 0
.LBB8_680:
	s_andn2_b64 vcc, exec, s[4:5]
	s_cbranch_vccnz .LBB8_682
; %bb.681:
	global_load_sshort v0, v[2:3], off
	s_waitcnt vmcnt(0)
	v_cvt_f64_i32_e32 v[0:1], v0
.LBB8_682:
	s_mov_b64 s[4:5], 0
.LBB8_683:
	s_andn2_b64 vcc, exec, s[4:5]
	s_cbranch_vccnz .LBB8_689
; %bb.684:
	s_cmp_gt_i32 s10, 0
	s_cbranch_scc0 .LBB8_686
; %bb.685:
	global_load_sbyte v0, v[2:3], off
	s_mov_b64 s[4:5], 0
	s_waitcnt vmcnt(0)
	v_cvt_f64_i32_e32 v[0:1], v0
	s_branch .LBB8_687
.LBB8_686:
	s_mov_b64 s[4:5], -1
                                        ; implicit-def: $vgpr0_vgpr1
.LBB8_687:
	s_andn2_b64 vcc, exec, s[4:5]
	s_cbranch_vccnz .LBB8_689
; %bb.688:
	global_load_ubyte v0, v[2:3], off
	s_waitcnt vmcnt(0)
	v_cvt_f64_u32_e32 v[0:1], v0
.LBB8_689:
	s_mov_b64 s[4:5], -1
.LBB8_690:
	s_andn2_b64 vcc, exec, s[4:5]
	s_cbranch_vccnz .LBB8_698
; %bb.691:
	s_getpc_b64 s[4:5]
	s_add_u32 s4, s4, _ZZZZN2at6native12_GLOBAL__N_121bessel_j1_kernel_cudaERNS_18TensorIteratorBaseEENKUlvE_clEvENKUlvE_clEvENKUldE_clEd@rel32@lo+4
	s_addc_u32 s5, s5, _ZZZZN2at6native12_GLOBAL__N_121bessel_j1_kernel_cudaERNS_18TensorIteratorBaseEENKUlvE_clEvENKUlvE_clEvENKUldE_clEd@rel32@hi+12
	s_swappc_b64 s[30:31], s[4:5]
	v_mov_b32_e32 v2, s37
	s_and_b32 s12, s85, 0xff
	v_add_co_u32_e32 v4, vcc, s36, v38
	s_cmp_lt_i32 s12, 11
	v_addc_co_u32_e32 v5, vcc, 0, v2, vcc
	s_cbranch_scc1 .LBB8_699
; %bb.692:
	s_and_b32 s13, 0xffff, s12
	s_cmp_gt_i32 s13, 25
	s_cbranch_scc0 .LBB8_700
; %bb.693:
	s_cmp_gt_i32 s13, 28
	s_cbranch_scc0 .LBB8_701
; %bb.694:
	;; [unrolled: 3-line block ×4, first 2 shown]
	s_mov_b64 s[8:9], 0
	s_mov_b64 s[4:5], -1
	s_cmp_eq_u32 s13, 46
	s_mov_b64 s[6:7], 0
	s_cbranch_scc0 .LBB8_704
; %bb.697:
	v_cvt_f32_f64_e32 v2, v[0:1]
	s_movk_i32 s4, 0x7fff
	v_mov_b32_e32 v3, 0x7fc0
	s_mov_b64 s[6:7], -1
	v_bfe_u32 v6, v2, 16, 1
	v_cmp_o_f32_e32 vcc, v2, v2
	v_add3_u32 v2, v2, v6, s4
	v_cndmask_b32_sdwa v2, v3, v2, vcc dst_sel:DWORD dst_unused:UNUSED_PAD src0_sel:DWORD src1_sel:WORD_1
	global_store_dword v[4:5], v2, off
	s_mov_b64 s[4:5], 0
	s_branch .LBB8_704
.LBB8_698:
	s_mov_b64 s[6:7], 0
	s_mov_b64 s[4:5], s[76:77]
	s_branch .LBB8_815
.LBB8_699:
	s_mov_b64 s[8:9], -1
	s_mov_b64 s[6:7], 0
	s_mov_b64 s[4:5], s[76:77]
	s_branch .LBB8_773
.LBB8_700:
	s_mov_b64 s[8:9], -1
	s_mov_b64 s[6:7], 0
	s_mov_b64 s[4:5], s[76:77]
	s_branch .LBB8_731
.LBB8_701:
	s_mov_b64 s[8:9], -1
	s_mov_b64 s[6:7], 0
	s_mov_b64 s[4:5], s[76:77]
	s_branch .LBB8_714
.LBB8_702:
	s_mov_b64 s[8:9], -1
	s_mov_b64 s[6:7], 0
	s_mov_b64 s[4:5], s[76:77]
	s_branch .LBB8_710
.LBB8_703:
	s_mov_b64 s[8:9], -1
	s_mov_b64 s[6:7], 0
	s_mov_b64 s[4:5], s[76:77]
.LBB8_704:
	s_and_b64 vcc, exec, s[8:9]
	s_cbranch_vccz .LBB8_709
; %bb.705:
	s_cmp_eq_u32 s13, 44
	s_mov_b64 s[4:5], -1
	s_cbranch_scc0 .LBB8_709
; %bb.706:
	v_cvt_f32_f64_e32 v2, v[0:1]
	s_movk_i32 s4, 0xff
	v_mov_b32_e32 v6, 0xff
	v_bfe_u32 v3, v2, 23, 8
	v_cmp_ne_u32_e32 vcc, s4, v3
	s_and_saveexec_b64 s[6:7], vcc
; %bb.707:
	s_mov_b32 s4, 0x3fffff
	v_lshrrev_b32_e32 v6, 23, v2
	v_and_b32_e32 v7, 0x400000, v2
	v_and_or_b32 v2, v2, s4, v3
	v_cmp_ne_u32_e32 vcc, 0, v7
	v_cmp_ne_u32_e64 s[4:5], 0, v2
	s_and_b64 s[4:5], vcc, s[4:5]
	v_cndmask_b32_e64 v2, 0, 1, s[4:5]
	v_add_u32_e32 v6, v6, v2
; %bb.708:
	s_or_b64 exec, exec, s[6:7]
	s_mov_b64 s[6:7], -1
	s_mov_b64 s[4:5], 0
	global_store_byte v[4:5], v6, off
.LBB8_709:
	s_mov_b64 s[8:9], 0
.LBB8_710:
	s_and_b64 vcc, exec, s[8:9]
	s_cbranch_vccz .LBB8_713
; %bb.711:
	s_cmp_eq_u32 s13, 29
	s_mov_b64 s[4:5], -1
	s_cbranch_scc0 .LBB8_713
; %bb.712:
	v_trunc_f64_e32 v[2:3], v[0:1]
	s_movk_i32 s4, 0xffe0
	s_mov_b64 s[6:7], -1
	s_mov_b64 s[8:9], 0
	v_ldexp_f64 v[6:7], v[2:3], s4
	s_mov_b32 s4, 0
	s_mov_b32 s5, 0xc1f00000
	v_floor_f64_e32 v[6:7], v[6:7]
	v_fma_f64 v[2:3], v[6:7], s[4:5], v[2:3]
	v_cvt_u32_f64_e32 v7, v[6:7]
	s_mov_b64 s[4:5], 0
	v_cvt_u32_f64_e32 v6, v[2:3]
	global_store_dwordx2 v[4:5], v[6:7], off
	s_branch .LBB8_714
.LBB8_713:
	s_mov_b64 s[8:9], 0
.LBB8_714:
	s_and_b64 vcc, exec, s[8:9]
	s_cbranch_vccz .LBB8_730
; %bb.715:
	s_cmp_lt_i32 s13, 27
	s_mov_b64 s[6:7], -1
	s_cbranch_scc1 .LBB8_721
; %bb.716:
	v_cvt_u32_f64_e32 v2, v[0:1]
	s_cmp_gt_i32 s13, 27
	s_cbranch_scc0 .LBB8_718
; %bb.717:
	s_mov_b64 s[6:7], 0
	global_store_dword v[4:5], v2, off
.LBB8_718:
	s_andn2_b64 vcc, exec, s[6:7]
	s_cbranch_vccnz .LBB8_720
; %bb.719:
	global_store_short v[4:5], v2, off
.LBB8_720:
	s_mov_b64 s[6:7], 0
.LBB8_721:
	s_andn2_b64 vcc, exec, s[6:7]
	s_cbranch_vccnz .LBB8_729
; %bb.722:
	v_cvt_f32_f64_e32 v2, v[0:1]
	s_mov_b32 s6, 0x43800000
	v_mov_b32_e32 v6, 0x80
	v_and_b32_e32 v3, 0x7fffffff, v2
	v_cmp_gt_u32_e32 vcc, s6, v3
	s_and_saveexec_b64 s[6:7], vcc
	s_cbranch_execz .LBB8_728
; %bb.723:
	s_mov_b32 s8, 0x3bffffff
	v_cmp_lt_u32_e32 vcc, s8, v3
	s_mov_b64 s[8:9], 0
                                        ; implicit-def: $vgpr3
	s_and_saveexec_b64 s[10:11], vcc
	s_xor_b64 s[10:11], exec, s[10:11]
	s_cbranch_execz .LBB8_845
; %bb.724:
	v_bfe_u32 v3, v2, 20, 1
	s_mov_b32 s14, 0x487ffff
	v_add3_u32 v3, v2, v3, s14
	s_mov_b64 s[8:9], exec
	v_lshrrev_b32_e32 v3, 20, v3
	s_andn2_saveexec_b64 s[10:11], s[10:11]
	s_cbranch_execnz .LBB8_846
.LBB8_725:
	s_or_b64 exec, exec, s[10:11]
	v_mov_b32_e32 v6, 0
	s_and_saveexec_b64 s[10:11], s[8:9]
.LBB8_726:
	v_lshrrev_b32_e32 v2, 24, v2
	s_movk_i32 s8, 0x80
	v_and_or_b32 v6, v2, s8, v3
.LBB8_727:
	s_or_b64 exec, exec, s[10:11]
.LBB8_728:
	s_or_b64 exec, exec, s[6:7]
	global_store_byte v[4:5], v6, off
.LBB8_729:
	s_mov_b64 s[6:7], -1
.LBB8_730:
	s_mov_b64 s[8:9], 0
.LBB8_731:
	s_and_b64 vcc, exec, s[8:9]
	s_cbranch_vccz .LBB8_772
; %bb.732:
	s_cmp_gt_i32 s13, 22
	s_mov_b64 s[8:9], -1
	s_cbranch_scc0 .LBB8_764
; %bb.733:
	s_cmp_lt_i32 s13, 24
	s_mov_b64 s[6:7], -1
	s_cbranch_scc1 .LBB8_753
; %bb.734:
	s_cmp_gt_i32 s13, 24
	s_cbranch_scc0 .LBB8_742
; %bb.735:
	v_cvt_f32_f64_e32 v2, v[0:1]
	s_mov_b32 s6, 0x47800000
	v_mov_b32_e32 v6, 0x80
	v_and_b32_e32 v3, 0x7fffffff, v2
	v_cmp_gt_u32_e32 vcc, s6, v3
	s_and_saveexec_b64 s[6:7], vcc
	s_cbranch_execz .LBB8_741
; %bb.736:
	s_mov_b32 s8, 0x37ffffff
	v_cmp_lt_u32_e32 vcc, s8, v3
	s_mov_b64 s[8:9], 0
                                        ; implicit-def: $vgpr3
	s_and_saveexec_b64 s[10:11], vcc
	s_xor_b64 s[10:11], exec, s[10:11]
	s_cbranch_execz .LBB8_848
; %bb.737:
	v_bfe_u32 v3, v2, 21, 1
	s_mov_b32 s14, 0x88fffff
	v_add3_u32 v3, v2, v3, s14
	s_mov_b64 s[8:9], exec
	v_lshrrev_b32_e32 v3, 21, v3
	s_andn2_saveexec_b64 s[10:11], s[10:11]
	s_cbranch_execnz .LBB8_849
.LBB8_738:
	s_or_b64 exec, exec, s[10:11]
	v_mov_b32_e32 v6, 0
	s_and_saveexec_b64 s[10:11], s[8:9]
.LBB8_739:
	v_lshrrev_b32_e32 v2, 24, v2
	s_movk_i32 s8, 0x80
	v_and_or_b32 v6, v2, s8, v3
.LBB8_740:
	s_or_b64 exec, exec, s[10:11]
.LBB8_741:
	s_or_b64 exec, exec, s[6:7]
	s_mov_b64 s[6:7], 0
	global_store_byte v[4:5], v6, off
.LBB8_742:
	s_and_b64 vcc, exec, s[6:7]
	s_cbranch_vccz .LBB8_752
; %bb.743:
	v_cvt_f32_f64_e32 v2, v[0:1]
	s_mov_b32 s6, 0x43f00000
                                        ; implicit-def: $vgpr3
	v_and_b32_e32 v6, 0x7fffffff, v2
	v_cmp_gt_u32_e32 vcc, s6, v6
	s_and_saveexec_b64 s[6:7], vcc
	s_xor_b64 s[6:7], exec, s[6:7]
	s_cbranch_execz .LBB8_749
; %bb.744:
	s_mov_b32 s8, 0x3c7fffff
	v_cmp_lt_u32_e32 vcc, s8, v6
                                        ; implicit-def: $vgpr3
	s_and_saveexec_b64 s[8:9], vcc
	s_xor_b64 s[8:9], exec, s[8:9]
; %bb.745:
	v_bfe_u32 v3, v2, 20, 1
	s_mov_b32 s10, 0x407ffff
	v_add3_u32 v3, v2, v3, s10
	v_lshrrev_b32_e32 v6, 20, v3
	v_and_b32_e32 v3, 0xff00000, v3
	s_mov_b32 s10, 0x7f00000
	v_mov_b32_e32 v7, 0x7e
	v_cmp_ne_u32_e32 vcc, s10, v3
	v_cndmask_b32_e32 v3, v7, v6, vcc
; %bb.746:
	s_andn2_saveexec_b64 s[8:9], s[8:9]
; %bb.747:
	s_mov_b32 s10, 0x46800000
	v_add_f32_e64 v3, |v2|, s10
; %bb.748:
	s_or_b64 exec, exec, s[8:9]
                                        ; implicit-def: $vgpr6
.LBB8_749:
	s_andn2_saveexec_b64 s[6:7], s[6:7]
; %bb.750:
	s_mov_b32 s8, 0x7f800000
	v_mov_b32_e32 v3, 0x7e
	v_mov_b32_e32 v7, 0x7f
	v_cmp_lt_u32_e32 vcc, s8, v6
	v_cndmask_b32_e32 v3, v3, v7, vcc
; %bb.751:
	s_or_b64 exec, exec, s[6:7]
	v_lshrrev_b32_e32 v2, 24, v2
	s_movk_i32 s6, 0x80
	v_and_or_b32 v2, v2, s6, v3
	global_store_byte v[4:5], v2, off
.LBB8_752:
	s_mov_b64 s[6:7], 0
.LBB8_753:
	s_andn2_b64 vcc, exec, s[6:7]
	s_cbranch_vccnz .LBB8_763
; %bb.754:
	v_cvt_f32_f64_e32 v2, v[0:1]
	s_mov_b32 s6, 0x47800000
                                        ; implicit-def: $vgpr3
	v_and_b32_e32 v6, 0x7fffffff, v2
	v_cmp_gt_u32_e32 vcc, s6, v6
	s_and_saveexec_b64 s[6:7], vcc
	s_xor_b64 s[6:7], exec, s[6:7]
	s_cbranch_execz .LBB8_760
; %bb.755:
	s_mov_b32 s8, 0x387fffff
	v_cmp_lt_u32_e32 vcc, s8, v6
                                        ; implicit-def: $vgpr3
	s_and_saveexec_b64 s[8:9], vcc
	s_xor_b64 s[8:9], exec, s[8:9]
; %bb.756:
	v_bfe_u32 v3, v2, 21, 1
	s_mov_b32 s10, 0x80fffff
	v_add3_u32 v3, v2, v3, s10
	v_lshrrev_b32_e32 v3, 21, v3
; %bb.757:
	s_andn2_saveexec_b64 s[8:9], s[8:9]
; %bb.758:
	s_mov_b32 s10, 0x43000000
	v_add_f32_e64 v3, |v2|, s10
; %bb.759:
	s_or_b64 exec, exec, s[8:9]
                                        ; implicit-def: $vgpr6
.LBB8_760:
	s_andn2_saveexec_b64 s[6:7], s[6:7]
; %bb.761:
	s_mov_b32 s8, 0x7f800000
	v_mov_b32_e32 v3, 0x7c
	v_mov_b32_e32 v7, 0x7f
	v_cmp_lt_u32_e32 vcc, s8, v6
	v_cndmask_b32_e32 v3, v3, v7, vcc
; %bb.762:
	s_or_b64 exec, exec, s[6:7]
	v_lshrrev_b32_e32 v2, 24, v2
	s_movk_i32 s6, 0x80
	v_and_or_b32 v2, v2, s6, v3
	global_store_byte v[4:5], v2, off
.LBB8_763:
	s_mov_b64 s[8:9], 0
	s_mov_b64 s[6:7], -1
.LBB8_764:
	s_andn2_b64 vcc, exec, s[8:9]
	s_cbranch_vccnz .LBB8_772
; %bb.765:
	s_cmp_gt_i32 s13, 14
	s_mov_b64 s[8:9], -1
	s_cbranch_scc0 .LBB8_769
; %bb.766:
	s_cmp_eq_u32 s13, 15
	s_mov_b64 s[4:5], -1
	s_cbranch_scc0 .LBB8_768
; %bb.767:
	v_cvt_f32_f64_e32 v2, v[0:1]
	s_movk_i32 s4, 0x7fff
	v_mov_b32_e32 v3, 0x7fc0
	s_mov_b64 s[6:7], -1
	v_bfe_u32 v6, v2, 16, 1
	v_cmp_o_f32_e32 vcc, v2, v2
	v_add3_u32 v2, v2, v6, s4
	v_cndmask_b32_sdwa v2, v3, v2, vcc dst_sel:DWORD dst_unused:UNUSED_PAD src0_sel:DWORD src1_sel:WORD_1
	global_store_short v[4:5], v2, off
	s_mov_b64 s[4:5], 0
.LBB8_768:
	s_mov_b64 s[8:9], 0
.LBB8_769:
	s_and_b64 vcc, exec, s[8:9]
	s_cbranch_vccz .LBB8_772
; %bb.770:
	s_cmp_eq_u32 s13, 11
	s_mov_b64 s[4:5], -1
	s_cbranch_scc0 .LBB8_772
; %bb.771:
	v_cmp_neq_f64_e32 vcc, 0, v[0:1]
	s_mov_b64 s[4:5], 0
	s_mov_b64 s[6:7], -1
	v_cndmask_b32_e64 v2, 0, 1, vcc
	global_store_byte v[4:5], v2, off
.LBB8_772:
	s_mov_b64 s[8:9], 0
.LBB8_773:
	s_and_b64 vcc, exec, s[8:9]
	s_cbranch_vccz .LBB8_812
; %bb.774:
	s_and_b32 s8, 0xffff, s12
	s_cmp_lt_i32 s8, 5
	s_mov_b64 s[6:7], -1
	s_cbranch_scc1 .LBB8_795
; %bb.775:
	s_cmp_lt_i32 s8, 8
	s_cbranch_scc1 .LBB8_785
; %bb.776:
	s_cmp_lt_i32 s8, 9
	s_cbranch_scc1 .LBB8_782
; %bb.777:
	s_cmp_gt_i32 s8, 9
	s_cbranch_scc0 .LBB8_779
; %bb.778:
	v_mov_b32_e32 v2, 0
	v_mov_b32_e32 v3, v2
	s_mov_b64 s[6:7], 0
	global_store_dwordx4 v[4:5], v[0:3], off
.LBB8_779:
	s_andn2_b64 vcc, exec, s[6:7]
	s_cbranch_vccnz .LBB8_781
; %bb.780:
	v_cvt_f32_f64_e32 v2, v[0:1]
	v_mov_b32_e32 v3, 0
	global_store_dwordx2 v[4:5], v[2:3], off
.LBB8_781:
	s_mov_b64 s[6:7], 0
.LBB8_782:
	s_andn2_b64 vcc, exec, s[6:7]
	s_cbranch_vccnz .LBB8_784
; %bb.783:
	s_movk_i32 s6, 0x1ff
	v_and_or_b32 v2, v1, s6, v0
	v_cmp_ne_u32_e32 vcc, 0, v2
	v_cndmask_b32_e64 v2, 0, 1, vcc
	v_lshrrev_b32_e32 v3, 8, v1
	s_movk_i32 s6, 0xffe
	v_bfe_u32 v6, v1, 20, 11
	v_and_or_b32 v2, v3, s6, v2
	v_sub_u32_e32 v7, 0x3f1, v6
	v_or_b32_e32 v3, 0x1000, v2
	v_med3_i32 v7, v7, 0, 13
	v_lshrrev_b32_e32 v8, v7, v3
	v_lshlrev_b32_e32 v7, v7, v8
	v_cmp_ne_u32_e32 vcc, v7, v3
	v_cndmask_b32_e64 v3, 0, 1, vcc
	v_add_u32_e32 v6, 0xfffffc10, v6
	v_or_b32_e32 v3, v8, v3
	v_lshl_or_b32 v7, v6, 12, v2
	v_cmp_gt_i32_e32 vcc, 1, v6
	v_cndmask_b32_e32 v3, v7, v3, vcc
	v_and_b32_e32 v7, 7, v3
	v_cmp_lt_i32_e32 vcc, 5, v7
	v_cndmask_b32_e64 v8, 0, 1, vcc
	v_cmp_eq_u32_e32 vcc, 3, v7
	v_cndmask_b32_e64 v7, 0, 1, vcc
	v_or_b32_e32 v7, v7, v8
	v_lshrrev_b32_e32 v3, 2, v3
	v_add_u32_e32 v3, v3, v7
	v_mov_b32_e32 v7, 0x7c00
	v_cmp_gt_i32_e32 vcc, 31, v6
	v_cndmask_b32_e32 v3, v7, v3, vcc
	v_mov_b32_e32 v8, 0x7e00
	v_cmp_ne_u32_e32 vcc, 0, v2
	s_movk_i32 s6, 0x40f
	v_cndmask_b32_e32 v2, v7, v8, vcc
	v_cmp_eq_u32_e32 vcc, s6, v6
	v_cndmask_b32_e32 v2, v3, v2, vcc
	v_lshrrev_b32_e32 v3, 16, v1
	s_mov_b32 s6, 0x8000
	v_and_or_b32 v2, v3, s6, v2
	v_and_b32_e32 v2, 0xffff, v2
	global_store_dword v[4:5], v2, off
.LBB8_784:
	s_mov_b64 s[6:7], 0
.LBB8_785:
	s_andn2_b64 vcc, exec, s[6:7]
	s_cbranch_vccnz .LBB8_794
; %bb.786:
	s_cmp_lt_i32 s8, 6
	s_mov_b64 s[6:7], -1
	s_cbranch_scc1 .LBB8_792
; %bb.787:
	s_cmp_gt_i32 s8, 6
	s_cbranch_scc0 .LBB8_789
; %bb.788:
	s_mov_b64 s[6:7], 0
	global_store_dwordx2 v[4:5], v[0:1], off
.LBB8_789:
	s_andn2_b64 vcc, exec, s[6:7]
	s_cbranch_vccnz .LBB8_791
; %bb.790:
	v_cvt_f32_f64_e32 v2, v[0:1]
	global_store_dword v[4:5], v2, off
.LBB8_791:
	s_mov_b64 s[6:7], 0
.LBB8_792:
	s_andn2_b64 vcc, exec, s[6:7]
	s_cbranch_vccnz .LBB8_794
; %bb.793:
	s_movk_i32 s6, 0x1ff
	v_and_or_b32 v2, v1, s6, v0
	v_cmp_ne_u32_e32 vcc, 0, v2
	v_cndmask_b32_e64 v2, 0, 1, vcc
	v_lshrrev_b32_e32 v3, 8, v1
	s_movk_i32 s6, 0xffe
	v_bfe_u32 v6, v1, 20, 11
	v_and_or_b32 v2, v3, s6, v2
	v_sub_u32_e32 v7, 0x3f1, v6
	v_or_b32_e32 v3, 0x1000, v2
	v_med3_i32 v7, v7, 0, 13
	v_lshrrev_b32_e32 v8, v7, v3
	v_lshlrev_b32_e32 v7, v7, v8
	v_cmp_ne_u32_e32 vcc, v7, v3
	v_cndmask_b32_e64 v3, 0, 1, vcc
	v_add_u32_e32 v6, 0xfffffc10, v6
	v_or_b32_e32 v3, v8, v3
	v_lshl_or_b32 v7, v6, 12, v2
	v_cmp_gt_i32_e32 vcc, 1, v6
	v_cndmask_b32_e32 v3, v7, v3, vcc
	v_and_b32_e32 v7, 7, v3
	v_cmp_lt_i32_e32 vcc, 5, v7
	v_cndmask_b32_e64 v8, 0, 1, vcc
	v_cmp_eq_u32_e32 vcc, 3, v7
	v_cndmask_b32_e64 v7, 0, 1, vcc
	v_or_b32_e32 v7, v7, v8
	v_lshrrev_b32_e32 v3, 2, v3
	v_add_u32_e32 v3, v3, v7
	v_mov_b32_e32 v7, 0x7c00
	v_cmp_gt_i32_e32 vcc, 31, v6
	v_cndmask_b32_e32 v3, v7, v3, vcc
	v_mov_b32_e32 v8, 0x7e00
	v_cmp_ne_u32_e32 vcc, 0, v2
	s_movk_i32 s6, 0x40f
	v_cndmask_b32_e32 v2, v7, v8, vcc
	v_cmp_eq_u32_e32 vcc, s6, v6
	v_cndmask_b32_e32 v2, v3, v2, vcc
	v_lshrrev_b32_e32 v3, 16, v1
	s_mov_b32 s6, 0x8000
	v_and_or_b32 v2, v3, s6, v2
	global_store_short v[4:5], v2, off
.LBB8_794:
	s_mov_b64 s[6:7], 0
.LBB8_795:
	s_andn2_b64 vcc, exec, s[6:7]
	s_cbranch_vccnz .LBB8_811
; %bb.796:
	s_cmp_lt_i32 s8, 2
	s_mov_b64 s[6:7], -1
	s_cbranch_scc1 .LBB8_806
; %bb.797:
	s_cmp_lt_i32 s8, 3
	s_cbranch_scc1 .LBB8_803
; %bb.798:
	s_cmp_gt_i32 s8, 3
	s_cbranch_scc0 .LBB8_800
; %bb.799:
	v_trunc_f64_e32 v[2:3], v[0:1]
	s_movk_i32 s6, 0xffe0
	v_ldexp_f64 v[6:7], v[2:3], s6
	s_mov_b32 s6, 0
	s_mov_b32 s7, 0xc1f00000
	v_floor_f64_e32 v[6:7], v[6:7]
	v_fma_f64 v[2:3], v[6:7], s[6:7], v[2:3]
	v_cvt_i32_f64_e32 v7, v[6:7]
	s_mov_b64 s[6:7], 0
	v_cvt_u32_f64_e32 v6, v[2:3]
	global_store_dwordx2 v[4:5], v[6:7], off
.LBB8_800:
	s_andn2_b64 vcc, exec, s[6:7]
	s_cbranch_vccnz .LBB8_802
; %bb.801:
	v_cvt_i32_f64_e32 v2, v[0:1]
	global_store_dword v[4:5], v2, off
.LBB8_802:
	s_mov_b64 s[6:7], 0
.LBB8_803:
	s_andn2_b64 vcc, exec, s[6:7]
	s_cbranch_vccnz .LBB8_805
; %bb.804:
	v_cvt_i32_f64_e32 v2, v[0:1]
	global_store_short v[4:5], v2, off
.LBB8_805:
	s_mov_b64 s[6:7], 0
.LBB8_806:
	s_andn2_b64 vcc, exec, s[6:7]
	s_cbranch_vccnz .LBB8_811
; %bb.807:
	s_cmp_gt_i32 s8, 0
	s_mov_b64 s[6:7], -1
	s_cbranch_scc0 .LBB8_809
; %bb.808:
	v_cvt_i32_f64_e32 v2, v[0:1]
	s_mov_b64 s[6:7], 0
	global_store_byte v[4:5], v2, off
.LBB8_809:
	s_andn2_b64 vcc, exec, s[6:7]
	s_cbranch_vccnz .LBB8_811
; %bb.810:
	v_trunc_f64_e32 v[0:1], v[0:1]
	s_movk_i32 s6, 0xffe0
	v_ldexp_f64 v[2:3], v[0:1], s6
	s_mov_b32 s6, 0
	s_mov_b32 s7, 0xc1f00000
	v_floor_f64_e32 v[2:3], v[2:3]
	v_fma_f64 v[0:1], v[2:3], s[6:7], v[0:1]
	v_cvt_u32_f64_e32 v0, v[0:1]
	global_store_byte v[4:5], v0, off
.LBB8_811:
	s_mov_b64 s[6:7], -1
.LBB8_812:
	s_andn2_b64 vcc, exec, s[6:7]
	s_cbranch_vccnz .LBB8_814
; %bb.813:
	v_add_u32_e32 v40, 0x80, v40
	s_mov_b64 s[6:7], -1
	s_branch .LBB8_816
.LBB8_814:
	s_mov_b64 s[6:7], 0
.LBB8_815:
                                        ; implicit-def: $vgpr40
.LBB8_816:
	s_andn2_b64 s[8:9], s[76:77], exec
	s_and_b64 s[4:5], s[4:5], exec
	s_or_b64 s[26:27], s[8:9], s[4:5]
	s_andn2_b64 s[4:5], s[74:75], exec
	s_and_b64 s[8:9], s[82:83], exec
	s_or_b64 s[24:25], s[4:5], s[8:9]
	s_orn2_b64 s[6:7], s[6:7], exec
.LBB8_817:
	s_or_b64 exec, exec, s[80:81]
	s_mov_b64 s[4:5], 0
	s_mov_b64 s[8:9], 0
	;; [unrolled: 1-line block ×3, first 2 shown]
                                        ; implicit-def: $vgpr0_vgpr1
                                        ; implicit-def: $vgpr38
                                        ; implicit-def: $vgpr2_vgpr3
	s_and_saveexec_b64 s[28:29], s[6:7]
	s_cbranch_execz .LBB8_916
; %bb.818:
	v_cmp_gt_i32_e32 vcc, s87, v40
	s_mov_b64 s[6:7], 0
	s_mov_b64 s[12:13], s[24:25]
                                        ; implicit-def: $vgpr0_vgpr1
                                        ; implicit-def: $vgpr38
                                        ; implicit-def: $vgpr2_vgpr3
	s_and_saveexec_b64 s[30:31], vcc
	s_cbranch_execz .LBB8_915
; %bb.819:
	s_andn2_b64 vcc, exec, s[56:57]
	s_cbranch_vccnz .LBB8_824
; %bb.820:
	s_andn2_b64 vcc, exec, s[66:67]
	s_cbranch_vccnz .LBB8_825
; %bb.821:
	s_add_i32 s88, s88, 1
	s_cmp_eq_u32 s84, 2
	s_cbranch_scc1 .LBB8_826
; %bb.822:
	s_and_b32 s42, s88, 28
	s_waitcnt vmcnt(0)
	v_mov_b32_e32 v0, 0
	s_mov_b32 s43, 0
	s_mov_b64 s[40:41], s[52:53]
	v_mov_b32_e32 v38, 0
	v_mov_b32_e32 v1, v40
.LBB8_823:                              ; =>This Inner Loop Header: Depth=1
	s_load_dwordx8 s[12:19], s[40:41], 0x4
	s_load_dwordx4 s[20:23], s[40:41], 0x24
	s_load_dwordx8 s[4:11], s[64:65], 0x0
	s_add_u32 s40, s40, 48
	s_addc_u32 s41, s41, 0
	s_waitcnt lgkmcnt(0)
	v_mul_hi_u32 v2, s13, v1
	s_add_i32 s43, s43, 4
	s_add_u32 s64, s64, 32
	s_addc_u32 s65, s65, 0
	v_add_u32_e32 v2, v1, v2
	v_lshrrev_b32_e32 v2, s14, v2
	v_mul_lo_u32 v3, v2, s12
	v_mul_hi_u32 v4, s16, v2
	s_cmp_eq_u32 s42, s43
	v_sub_u32_e32 v1, v1, v3
	v_add_u32_e32 v3, v2, v4
	v_mul_lo_u32 v4, v1, s4
	v_mul_lo_u32 v5, v1, s5
	v_lshrrev_b32_e32 v1, s17, v3
	v_mul_lo_u32 v3, v1, s15
	v_mul_hi_u32 v6, s19, v1
	v_sub_u32_e32 v2, v2, v3
	v_add_u32_e32 v3, v1, v6
	v_lshrrev_b32_e32 v3, s20, v3
	v_mul_hi_u32 v7, s22, v3
	v_mul_lo_u32 v8, v3, s18
	v_mul_lo_u32 v6, v2, s6
	;; [unrolled: 1-line block ×3, first 2 shown]
	v_sub_u32_e32 v8, v1, v8
	v_add_u32_e32 v1, v3, v7
	v_lshrrev_b32_e32 v1, s23, v1
	v_mul_lo_u32 v7, v1, s21
	v_mul_lo_u32 v9, v8, s8
	;; [unrolled: 1-line block ×3, first 2 shown]
	v_add3_u32 v4, v4, v38, v6
	v_sub_u32_e32 v3, v3, v7
	v_mul_lo_u32 v7, v3, s10
	v_mul_lo_u32 v3, v3, s11
	v_add3_u32 v0, v5, v0, v2
	v_add3_u32 v38, v9, v4, v7
	;; [unrolled: 1-line block ×3, first 2 shown]
	s_cbranch_scc0 .LBB8_823
	s_branch .LBB8_827
.LBB8_824:
	s_mov_b64 s[4:5], -1
                                        ; implicit-def: $vgpr38
                                        ; implicit-def: $vgpr0
	s_branch .LBB8_831
.LBB8_825:
	v_mov_b32_e32 v38, 0
	s_waitcnt vmcnt(0)
	v_mov_b32_e32 v0, 0
	s_branch .LBB8_830
.LBB8_826:
	s_mov_b32 s42, 0
	v_mov_b32_e32 v38, 0
	s_waitcnt vmcnt(0)
	v_mov_b32_e32 v0, 0
	v_mov_b32_e32 v1, v40
.LBB8_827:
	s_and_b32 s8, s88, 3
	s_cmp_eq_u32 s8, 0
	s_cbranch_scc1 .LBB8_830
; %bb.828:
	s_lshl_b32 s4, s42, 3
	s_add_u32 s4, s52, s4
	s_addc_u32 s5, s53, 0
	s_add_u32 s4, s4, 0xc4
	s_addc_u32 s5, s5, 0
	s_mul_i32 s6, s42, 12
	s_add_u32 s6, s52, s6
	s_addc_u32 s7, s53, 0
.LBB8_829:                              ; =>This Inner Loop Header: Depth=1
	s_load_dwordx2 s[10:11], s[6:7], 0x4
	s_load_dword s9, s[6:7], 0xc
	s_load_dwordx2 s[12:13], s[4:5], 0x0
	s_add_u32 s6, s6, 12
	s_addc_u32 s7, s7, 0
	s_waitcnt lgkmcnt(0)
	v_mul_hi_u32 v2, s11, v1
	s_add_u32 s4, s4, 8
	s_addc_u32 s5, s5, 0
	s_add_i32 s8, s8, -1
	v_add_u32_e32 v2, v1, v2
	v_lshrrev_b32_e32 v2, s9, v2
	v_mul_lo_u32 v3, v2, s10
	s_cmp_lg_u32 s8, 0
	v_sub_u32_e32 v1, v1, v3
	v_mad_u64_u32 v[38:39], s[10:11], v1, s12, v[38:39]
	v_mad_u64_u32 v[0:1], s[10:11], v1, s13, v[0:1]
	v_mov_b32_e32 v1, v2
	s_cbranch_scc1 .LBB8_829
.LBB8_830:
	s_mov_b64 s[4:5], 0
.LBB8_831:
	s_andn2_b64 vcc, exec, s[4:5]
	s_cbranch_vccnz .LBB8_834
; %bb.832:
	s_waitcnt vmcnt(0) lgkmcnt(0)
	v_mul_hi_u32 v0, s49, v40
	s_andn2_b64 vcc, exec, s[62:63]
	v_add_u32_e32 v0, v40, v0
	v_lshrrev_b32_e32 v1, s50, v0
	v_mul_lo_u32 v0, v1, s48
	v_sub_u32_e32 v0, v40, v0
	v_mul_lo_u32 v38, v0, s44
	v_mul_lo_u32 v0, v0, s45
	s_cbranch_vccnz .LBB8_834
; %bb.833:
	v_mul_hi_u32 v2, s60, v1
	v_add_u32_e32 v2, v1, v2
	v_lshrrev_b32_e32 v2, s61, v2
	v_mul_lo_u32 v2, v2, s51
	v_sub_u32_e32 v1, v1, v2
	v_mad_u64_u32 v[38:39], s[4:5], v1, s46, v[38:39]
	v_mad_u64_u32 v[0:1], s[4:5], v1, s47, v[0:1]
.LBB8_834:
	s_waitcnt vmcnt(0) lgkmcnt(0)
	v_mov_b32_e32 v1, s39
	s_and_b32 s14, 0xffff, s86
	v_add_co_u32_e32 v0, vcc, s38, v0
	s_cmp_lt_i32 s14, 11
	v_addc_co_u32_e32 v1, vcc, 0, v1, vcc
	s_cbranch_scc1 .LBB8_841
; %bb.835:
	s_cmp_gt_i32 s14, 25
	s_mov_b64 s[6:7], 0
	s_cbranch_scc0 .LBB8_842
; %bb.836:
	s_cmp_gt_i32 s14, 28
	s_cbranch_scc0 .LBB8_843
; %bb.837:
	s_cmp_gt_i32 s14, 43
	;; [unrolled: 3-line block ×3, first 2 shown]
	s_cbranch_scc0 .LBB8_847
; %bb.839:
	s_cmp_eq_u32 s14, 46
	s_mov_b64 s[10:11], 0
	s_cbranch_scc0 .LBB8_850
; %bb.840:
	global_load_dword v2, v[0:1], off
	s_mov_b64 s[4:5], 0
	s_mov_b64 s[8:9], -1
	s_waitcnt vmcnt(0)
	v_lshlrev_b32_e32 v2, 16, v2
	v_cvt_f64_f32_e32 v[2:3], v2
	s_branch .LBB8_851
.LBB8_841:
	s_mov_b64 s[12:13], -1
	s_mov_b64 s[8:9], 0
	s_mov_b64 s[6:7], 0
	;; [unrolled: 1-line block ×3, first 2 shown]
                                        ; implicit-def: $vgpr2_vgpr3
	s_branch .LBB8_914
.LBB8_842:
	s_mov_b64 s[10:11], -1
	s_mov_b64 s[8:9], 0
	s_mov_b64 s[4:5], s[24:25]
                                        ; implicit-def: $vgpr2_vgpr3
	s_branch .LBB8_882
.LBB8_843:
	s_mov_b64 s[10:11], -1
	s_mov_b64 s[8:9], 0
	s_mov_b64 s[4:5], s[24:25]
                                        ; implicit-def: $vgpr2_vgpr3
	s_branch .LBB8_861
.LBB8_844:
	s_mov_b64 s[10:11], -1
	s_mov_b64 s[8:9], 0
	s_mov_b64 s[4:5], s[24:25]
                                        ; implicit-def: $vgpr2_vgpr3
	s_branch .LBB8_856
.LBB8_845:
	s_andn2_saveexec_b64 s[10:11], s[10:11]
	s_cbranch_execz .LBB8_725
.LBB8_846:
	s_mov_b32 s14, 0x46000000
	v_add_f32_e64 v3, |v2|, s14
	v_and_b32_e32 v3, 0xff, v3
	v_cmp_ne_u32_e32 vcc, 0, v3
	s_andn2_b64 s[8:9], s[8:9], exec
	s_and_b64 s[14:15], vcc, exec
	s_or_b64 s[8:9], s[8:9], s[14:15]
	s_or_b64 exec, exec, s[10:11]
	v_mov_b32_e32 v6, 0
	s_and_saveexec_b64 s[10:11], s[8:9]
	s_cbranch_execnz .LBB8_726
	s_branch .LBB8_727
.LBB8_847:
	s_mov_b64 s[10:11], -1
	s_mov_b64 s[8:9], 0
	s_mov_b64 s[4:5], s[24:25]
                                        ; implicit-def: $vgpr2_vgpr3
	s_branch .LBB8_851
.LBB8_848:
	s_andn2_saveexec_b64 s[10:11], s[10:11]
	s_cbranch_execz .LBB8_738
.LBB8_849:
	s_mov_b32 s14, 0x42800000
	v_add_f32_e64 v3, |v2|, s14
	v_and_b32_e32 v3, 0xff, v3
	v_cmp_ne_u32_e32 vcc, 0, v3
	s_andn2_b64 s[8:9], s[8:9], exec
	s_and_b64 s[14:15], vcc, exec
	s_or_b64 s[8:9], s[8:9], s[14:15]
	s_or_b64 exec, exec, s[10:11]
	v_mov_b32_e32 v6, 0
	s_and_saveexec_b64 s[10:11], s[8:9]
	s_cbranch_execnz .LBB8_739
	s_branch .LBB8_740
.LBB8_850:
	s_mov_b64 s[4:5], -1
                                        ; implicit-def: $vgpr2_vgpr3
	s_mov_b64 s[8:9], 0
.LBB8_851:
	s_and_b64 vcc, exec, s[10:11]
	s_cbranch_vccz .LBB8_855
; %bb.852:
	s_cmp_eq_u32 s14, 44
	s_cbranch_scc0 .LBB8_854
; %bb.853:
	global_load_ubyte v4, v[0:1], off
	s_movk_i32 s8, 0xff
	v_bfrev_b32_e32 v5, 4
	v_mov_b32_e32 v6, 0x7ff80000
	v_bfrev_b32_e32 v7, 28
	s_mov_b64 s[4:5], 0
	s_waitcnt vmcnt(0)
	v_lshlrev_b32_e32 v2, 23, v4
	v_cvt_f64_f32_e32 v[2:3], v2
	v_cmp_ne_u32_e32 vcc, s8, v4
	s_mov_b64 s[8:9], -1
	v_cndmask_b32_e32 v2, v5, v2, vcc
	v_cndmask_b32_e32 v3, v6, v3, vcc
	v_cmp_ne_u32_e32 vcc, 0, v4
	v_cndmask_b32_e32 v3, v7, v3, vcc
	v_cndmask_b32_e32 v2, 0, v2, vcc
	s_branch .LBB8_855
.LBB8_854:
	s_mov_b64 s[4:5], -1
                                        ; implicit-def: $vgpr2_vgpr3
.LBB8_855:
	s_mov_b64 s[10:11], 0
.LBB8_856:
	s_and_b64 vcc, exec, s[10:11]
	s_cbranch_vccz .LBB8_860
; %bb.857:
	s_cmp_eq_u32 s14, 29
	s_cbranch_scc0 .LBB8_859
; %bb.858:
	global_load_dwordx2 v[2:3], v[0:1], off
	s_mov_b64 s[4:5], 0
	s_mov_b64 s[8:9], -1
	s_mov_b64 s[10:11], 0
	s_waitcnt vmcnt(0)
	v_cvt_f64_u32_e32 v[3:4], v3
	v_cvt_f64_u32_e32 v[5:6], v2
	v_ldexp_f64 v[3:4], v[3:4], 32
	v_add_f64 v[2:3], v[3:4], v[5:6]
	s_branch .LBB8_861
.LBB8_859:
	s_mov_b64 s[4:5], -1
                                        ; implicit-def: $vgpr2_vgpr3
.LBB8_860:
	s_mov_b64 s[10:11], 0
.LBB8_861:
	s_and_b64 vcc, exec, s[10:11]
	s_cbranch_vccz .LBB8_881
; %bb.862:
	s_cmp_lt_i32 s14, 27
	s_cbranch_scc1 .LBB8_865
; %bb.863:
	s_cmp_gt_i32 s14, 27
	s_cbranch_scc0 .LBB8_866
; %bb.864:
	global_load_dword v2, v[0:1], off
	s_mov_b64 s[8:9], 0
	s_waitcnt vmcnt(0)
	v_cvt_f64_u32_e32 v[2:3], v2
	s_branch .LBB8_867
.LBB8_865:
	s_mov_b64 s[8:9], -1
                                        ; implicit-def: $vgpr2_vgpr3
	s_branch .LBB8_870
.LBB8_866:
	s_mov_b64 s[8:9], -1
                                        ; implicit-def: $vgpr2_vgpr3
.LBB8_867:
	s_andn2_b64 vcc, exec, s[8:9]
	s_cbranch_vccnz .LBB8_869
; %bb.868:
	global_load_ushort v2, v[0:1], off
	s_waitcnt vmcnt(0)
	v_cvt_f64_u32_e32 v[2:3], v2
.LBB8_869:
	s_mov_b64 s[8:9], 0
.LBB8_870:
	s_andn2_b64 vcc, exec, s[8:9]
	s_cbranch_vccnz .LBB8_880
; %bb.871:
	global_load_ubyte v4, v[0:1], off
	s_movk_i32 s8, 0x7f
	s_waitcnt vmcnt(0)
	v_cmp_lt_i16_e32 vcc, s8, v4
	s_mov_b64 s[8:9], 0
	s_and_saveexec_b64 s[10:11], vcc
	s_xor_b64 s[10:11], exec, s[10:11]
	s_cbranch_execz .LBB8_875
; %bb.872:
	s_movk_i32 s8, 0x80
	v_cmp_eq_u16_e32 vcc, s8, v4
	s_mov_b64 s[8:9], -1
	s_and_saveexec_b64 s[12:13], vcc
; %bb.873:
	s_xor_b64 s[8:9], exec, -1
; %bb.874:
	s_or_b64 exec, exec, s[12:13]
	s_and_b64 s[8:9], s[8:9], exec
.LBB8_875:
	s_or_saveexec_b64 s[10:11], s[10:11]
	v_bfrev_b32_e32 v2, 4
	v_mov_b32_e32 v3, 0x7ff80000
	s_xor_b64 exec, exec, s[10:11]
; %bb.876:
	v_cmp_ne_u16_e32 vcc, 0, v4
	v_mov_b32_e32 v2, 0
	s_andn2_b64 s[8:9], s[8:9], exec
	s_and_b64 s[12:13], vcc, exec
	v_mov_b32_e32 v3, 0
	s_or_b64 s[8:9], s[8:9], s[12:13]
; %bb.877:
	s_or_b64 exec, exec, s[10:11]
	s_and_saveexec_b64 s[10:11], s[8:9]
	s_cbranch_execz .LBB8_879
; %bb.878:
	v_and_b32_e32 v3, 0xffff, v4
	v_lshlrev_b32_e32 v2, 24, v4
	v_and_b32_e32 v4, 7, v3
	v_ffbh_u32_e32 v6, v4
	v_min_u32_e32 v6, 32, v6
	v_subrev_u32_e32 v7, 28, v6
	v_bfe_u32 v5, v3, 3, 4
	v_lshlrev_b32_e32 v3, v7, v3
	v_sub_u32_e32 v6, 29, v6
	v_and_b32_e32 v3, 7, v3
	v_cmp_eq_u32_e32 vcc, 0, v5
	v_cndmask_b32_e32 v5, v5, v6, vcc
	v_cndmask_b32_e32 v3, v4, v3, vcc
	v_mov_b32_e32 v4, 0x3b800000
	v_lshlrev_b32_e32 v3, 20, v3
	v_and_b32_e32 v2, 0x80000000, v2
	v_lshl_add_u32 v4, v5, 23, v4
	v_or3_b32 v2, v2, v4, v3
	v_cvt_f64_f32_e32 v[2:3], v2
.LBB8_879:
	s_or_b64 exec, exec, s[10:11]
.LBB8_880:
	s_mov_b64 s[8:9], -1
.LBB8_881:
	s_mov_b64 s[10:11], 0
.LBB8_882:
	s_and_b64 vcc, exec, s[10:11]
	s_cbranch_vccz .LBB8_913
; %bb.883:
	s_cmp_gt_i32 s14, 22
	s_cbranch_scc0 .LBB8_895
; %bb.884:
	s_cmp_lt_i32 s14, 24
	s_cbranch_scc1 .LBB8_896
; %bb.885:
	s_cmp_gt_i32 s14, 24
	s_cbranch_scc0 .LBB8_897
; %bb.886:
	global_load_ubyte v4, v[0:1], off
	s_movk_i32 s6, 0x7f
	s_waitcnt vmcnt(0)
	v_cmp_lt_i16_e32 vcc, s6, v4
	s_mov_b64 s[6:7], 0
	s_and_saveexec_b64 s[8:9], vcc
	s_xor_b64 s[8:9], exec, s[8:9]
	s_cbranch_execz .LBB8_890
; %bb.887:
	s_movk_i32 s6, 0x80
	v_cmp_eq_u16_e32 vcc, s6, v4
	s_mov_b64 s[6:7], -1
	s_and_saveexec_b64 s[10:11], vcc
; %bb.888:
	s_xor_b64 s[6:7], exec, -1
; %bb.889:
	s_or_b64 exec, exec, s[10:11]
	s_and_b64 s[6:7], s[6:7], exec
.LBB8_890:
	s_or_saveexec_b64 s[8:9], s[8:9]
	v_bfrev_b32_e32 v2, 4
	v_mov_b32_e32 v3, 0x7ff80000
	s_xor_b64 exec, exec, s[8:9]
; %bb.891:
	v_cmp_ne_u16_e32 vcc, 0, v4
	v_mov_b32_e32 v2, 0
	s_andn2_b64 s[6:7], s[6:7], exec
	s_and_b64 s[10:11], vcc, exec
	v_mov_b32_e32 v3, 0
	s_or_b64 s[6:7], s[6:7], s[10:11]
; %bb.892:
	s_or_b64 exec, exec, s[8:9]
	s_and_saveexec_b64 s[8:9], s[6:7]
	s_cbranch_execz .LBB8_894
; %bb.893:
	v_and_b32_e32 v3, 0xffff, v4
	v_lshlrev_b32_e32 v2, 24, v4
	v_and_b32_e32 v4, 3, v3
	v_ffbh_u32_e32 v6, v4
	v_min_u32_e32 v6, 32, v6
	v_subrev_u32_e32 v7, 29, v6
	v_bfe_u32 v5, v3, 2, 5
	v_lshlrev_b32_e32 v3, v7, v3
	v_sub_u32_e32 v6, 30, v6
	v_and_b32_e32 v3, 3, v3
	v_cmp_eq_u32_e32 vcc, 0, v5
	v_cndmask_b32_e32 v5, v5, v6, vcc
	v_cndmask_b32_e32 v3, v4, v3, vcc
	v_mov_b32_e32 v4, 0x37800000
	v_lshlrev_b32_e32 v3, 21, v3
	v_and_b32_e32 v2, 0x80000000, v2
	v_lshl_add_u32 v4, v5, 23, v4
	v_or3_b32 v2, v2, v4, v3
	v_cvt_f64_f32_e32 v[2:3], v2
.LBB8_894:
	s_or_b64 exec, exec, s[8:9]
	s_mov_b64 s[6:7], 0
	s_branch .LBB8_898
.LBB8_895:
	s_mov_b64 s[6:7], -1
                                        ; implicit-def: $vgpr2_vgpr3
	s_branch .LBB8_904
.LBB8_896:
	s_mov_b64 s[6:7], -1
                                        ; implicit-def: $vgpr2_vgpr3
	s_branch .LBB8_901
.LBB8_897:
	s_mov_b64 s[6:7], -1
                                        ; implicit-def: $vgpr2_vgpr3
.LBB8_898:
	s_and_b64 vcc, exec, s[6:7]
	s_cbranch_vccz .LBB8_900
; %bb.899:
	global_load_ubyte v2, v[0:1], off
	s_mov_b32 s6, 0x7f800000
	s_waitcnt vmcnt(0)
	v_lshlrev_b32_e32 v2, 24, v2
	v_and_b32_e32 v3, 0x7f000000, v2
	v_ffbh_u32_e32 v4, v3
	v_min_u32_e32 v4, 32, v4
	v_sub_u32_e64 v4, v4, 4 clamp
	v_lshlrev_b32_e32 v6, v4, v3
	v_lshlrev_b32_e32 v4, 23, v4
	v_lshrrev_b32_e32 v6, 4, v6
	v_add_u32_e32 v5, 0x1000000, v3
	v_sub_u32_e32 v4, v6, v4
	v_ashrrev_i32_e32 v5, 8, v5
	v_add_u32_e32 v4, 0x3c000000, v4
	v_and_or_b32 v4, v5, s6, v4
	v_cmp_ne_u32_e32 vcc, 0, v3
	v_cndmask_b32_e32 v3, 0, v4, vcc
	s_brev_b32 s6, 1
	v_and_or_b32 v2, v2, s6, v3
	v_cvt_f64_f32_e32 v[2:3], v2
.LBB8_900:
	s_mov_b64 s[6:7], 0
.LBB8_901:
	s_andn2_b64 vcc, exec, s[6:7]
	s_cbranch_vccnz .LBB8_903
; %bb.902:
	global_load_ubyte v2, v[0:1], off
	s_movk_i32 s6, 0x7f00
	s_brev_b32 s7, 16
	s_waitcnt vmcnt(0)
	v_lshlrev_b16_e32 v3, 8, v2
	v_lshlrev_b32_e32 v2, 25, v2
	v_lshrrev_b32_e32 v4, 4, v2
	v_and_or_b32 v5, v3, s6, 0.5
	v_or_b32_e32 v4, 0x70000000, v4
	v_add_f32_e32 v5, -0.5, v5
	v_mul_f32_e32 v4, 0x7800000, v4
	v_cmp_gt_u32_e32 vcc, s7, v2
	v_bfe_i32 v3, v3, 0, 16
	v_cndmask_b32_e32 v2, v4, v5, vcc
	s_brev_b32 s6, 1
	v_and_or_b32 v2, v3, s6, v2
	v_cvt_f64_f32_e32 v[2:3], v2
.LBB8_903:
	s_mov_b64 s[6:7], 0
	s_mov_b64 s[8:9], -1
.LBB8_904:
	s_andn2_b64 vcc, exec, s[6:7]
	s_mov_b64 s[6:7], 0
	s_cbranch_vccnz .LBB8_913
; %bb.905:
	s_cmp_gt_i32 s14, 14
	s_cbranch_scc0 .LBB8_908
; %bb.906:
	s_cmp_eq_u32 s14, 15
	s_cbranch_scc0 .LBB8_909
; %bb.907:
	global_load_ushort v2, v[0:1], off
	s_mov_b64 s[4:5], 0
	s_mov_b64 s[8:9], -1
	s_waitcnt vmcnt(0)
	v_lshlrev_b32_e32 v2, 16, v2
	v_cvt_f64_f32_e32 v[2:3], v2
	s_branch .LBB8_910
.LBB8_908:
	s_mov_b64 s[10:11], -1
                                        ; implicit-def: $vgpr2_vgpr3
	s_branch .LBB8_911
.LBB8_909:
	s_mov_b64 s[4:5], -1
                                        ; implicit-def: $vgpr2_vgpr3
.LBB8_910:
	s_mov_b64 s[10:11], 0
.LBB8_911:
	s_and_b64 vcc, exec, s[10:11]
	s_cbranch_vccz .LBB8_913
; %bb.912:
	s_cmp_lg_u32 s14, 11
	s_cselect_b64 s[10:11], -1, 0
	s_andn2_b64 s[4:5], s[4:5], exec
	s_and_b64 s[10:11], s[10:11], exec
	s_mov_b64 s[6:7], -1
	s_or_b64 s[4:5], s[4:5], s[10:11]
.LBB8_913:
	s_mov_b64 s[12:13], 0
.LBB8_914:
	s_and_b64 s[10:11], s[8:9], exec
	s_and_b64 s[8:9], s[12:13], exec
	s_andn2_b64 s[12:13], s[24:25], exec
	s_and_b64 s[4:5], s[4:5], exec
	s_and_b64 s[6:7], s[6:7], exec
	s_or_b64 s[12:13], s[12:13], s[4:5]
.LBB8_915:
	s_or_b64 exec, exec, s[30:31]
	s_and_b64 s[4:5], s[6:7], exec
	s_andn2_b64 s[6:7], s[24:25], exec
	s_and_b64 s[12:13], s[12:13], exec
	s_and_b64 s[10:11], s[10:11], exec
	s_and_b64 s[8:9], s[8:9], exec
	s_or_b64 s[24:25], s[6:7], s[12:13]
.LBB8_916:
	s_or_b64 exec, exec, s[28:29]
	s_andn2_b64 s[6:7], s[76:77], exec
	s_and_b64 s[12:13], s[26:27], exec
	s_or_b64 s[76:77], s[6:7], s[12:13]
	s_and_b64 s[6:7], s[4:5], exec
	s_andn2_b64 s[4:5], s[74:75], exec
	s_and_b64 s[12:13], s[24:25], exec
	s_and_b64 s[10:11], s[10:11], exec
	;; [unrolled: 1-line block ×3, first 2 shown]
	s_or_b64 s[74:75], s[4:5], s[12:13]
.LBB8_917:
	s_or_b64 exec, exec, s[78:79]
	s_andn2_b64 s[4:5], s[68:69], exec
	s_and_b64 s[12:13], s[76:77], exec
	s_or_b64 s[68:69], s[4:5], s[12:13]
	s_and_b64 s[4:5], s[10:11], exec
	s_and_b64 s[76:77], s[6:7], exec
	s_andn2_b64 s[6:7], s[70:71], exec
	s_and_b64 s[10:11], s[74:75], exec
	s_and_b64 s[8:9], s[8:9], exec
	s_or_b64 s[70:71], s[6:7], s[10:11]
	s_or_b64 exec, exec, s[72:73]
	s_waitcnt lgkmcnt(0)
	s_mov_b64 s[38:39], 0
	s_and_saveexec_b64 s[6:7], s[70:71]
	s_cbranch_execz .LBB8_274
.LBB8_918:
	s_mov_b64 s[38:39], exec
	s_andn2_b64 s[76:77], s[76:77], exec
	s_trap 2
	s_or_b64 exec, exec, s[6:7]
	s_and_saveexec_b64 s[6:7], s[76:77]
	s_xor_b64 s[6:7], exec, s[6:7]
	s_cbranch_execnz .LBB8_275
.LBB8_919:
	s_or_b64 exec, exec, s[6:7]
	s_and_saveexec_b64 s[6:7], s[8:9]
	s_cbranch_execz .LBB8_965
.LBB8_920:
	s_sext_i32_i16 s8, s86
	s_cmp_lt_i32 s8, 5
	s_cbranch_scc1 .LBB8_925
; %bb.921:
	s_cmp_lt_i32 s8, 8
	s_cbranch_scc1 .LBB8_926
; %bb.922:
	;; [unrolled: 3-line block ×3, first 2 shown]
	s_cmp_gt_i32 s8, 9
	s_cbranch_scc0 .LBB8_928
; %bb.924:
	s_waitcnt vmcnt(0)
	global_load_dwordx2 v[2:3], v[0:1], off
	s_mov_b64 s[8:9], 0
	s_branch .LBB8_929
.LBB8_925:
                                        ; implicit-def: $vgpr2_vgpr3
	s_branch .LBB8_946
.LBB8_926:
                                        ; implicit-def: $vgpr2_vgpr3
	s_branch .LBB8_935
.LBB8_927:
	s_mov_b64 s[8:9], -1
                                        ; implicit-def: $vgpr2_vgpr3
	s_branch .LBB8_932
.LBB8_928:
	s_mov_b64 s[8:9], -1
                                        ; implicit-def: $vgpr2_vgpr3
.LBB8_929:
	s_andn2_b64 vcc, exec, s[8:9]
	s_cbranch_vccnz .LBB8_931
; %bb.930:
	s_waitcnt vmcnt(0)
	global_load_dword v2, v[0:1], off
	s_waitcnt vmcnt(0)
	v_cvt_f64_f32_e32 v[2:3], v2
.LBB8_931:
	s_mov_b64 s[8:9], 0
.LBB8_932:
	s_andn2_b64 vcc, exec, s[8:9]
	s_cbranch_vccnz .LBB8_934
; %bb.933:
	s_waitcnt vmcnt(0)
	global_load_dword v2, v[0:1], off
	s_waitcnt vmcnt(0)
	v_cvt_f32_f16_e32 v2, v2
	v_cvt_f64_f32_e32 v[2:3], v2
.LBB8_934:
	s_cbranch_execnz .LBB8_945
.LBB8_935:
	s_sext_i32_i16 s8, s86
	s_cmp_lt_i32 s8, 6
	s_cbranch_scc1 .LBB8_938
; %bb.936:
	s_cmp_gt_i32 s8, 6
	s_cbranch_scc0 .LBB8_939
; %bb.937:
	s_waitcnt vmcnt(0)
	global_load_dwordx2 v[2:3], v[0:1], off
	s_mov_b64 s[8:9], 0
	s_branch .LBB8_940
.LBB8_938:
	s_mov_b64 s[8:9], -1
                                        ; implicit-def: $vgpr2_vgpr3
	s_branch .LBB8_943
.LBB8_939:
	s_mov_b64 s[8:9], -1
                                        ; implicit-def: $vgpr2_vgpr3
.LBB8_940:
	s_andn2_b64 vcc, exec, s[8:9]
	s_cbranch_vccnz .LBB8_942
; %bb.941:
	s_waitcnt vmcnt(0)
	global_load_dword v2, v[0:1], off
	s_waitcnt vmcnt(0)
	v_cvt_f64_f32_e32 v[2:3], v2
.LBB8_942:
	s_mov_b64 s[8:9], 0
.LBB8_943:
	s_andn2_b64 vcc, exec, s[8:9]
	s_cbranch_vccnz .LBB8_945
; %bb.944:
	s_waitcnt vmcnt(0)
	global_load_ushort v2, v[0:1], off
	s_waitcnt vmcnt(0)
	v_cvt_f32_f16_e32 v2, v2
	v_cvt_f64_f32_e32 v[2:3], v2
.LBB8_945:
	s_cbranch_execnz .LBB8_964
.LBB8_946:
	s_sext_i32_i16 s8, s86
	s_cmp_lt_i32 s8, 2
	s_cbranch_scc1 .LBB8_950
; %bb.947:
	s_cmp_lt_i32 s8, 3
	s_cbranch_scc1 .LBB8_951
; %bb.948:
	s_cmp_gt_i32 s8, 3
	s_cbranch_scc0 .LBB8_952
; %bb.949:
	s_waitcnt vmcnt(0)
	global_load_dwordx2 v[2:3], v[0:1], off
	s_mov_b64 s[8:9], 0
	s_waitcnt vmcnt(0)
	v_cvt_f64_i32_e32 v[3:4], v3
	v_cvt_f64_u32_e32 v[5:6], v2
	v_ldexp_f64 v[3:4], v[3:4], 32
	v_add_f64 v[2:3], v[3:4], v[5:6]
	s_branch .LBB8_953
.LBB8_950:
                                        ; implicit-def: $vgpr2_vgpr3
	s_branch .LBB8_959
.LBB8_951:
	s_mov_b64 s[8:9], -1
                                        ; implicit-def: $vgpr2_vgpr3
	s_branch .LBB8_956
.LBB8_952:
	s_mov_b64 s[8:9], -1
                                        ; implicit-def: $vgpr2_vgpr3
.LBB8_953:
	s_andn2_b64 vcc, exec, s[8:9]
	s_cbranch_vccnz .LBB8_955
; %bb.954:
	s_waitcnt vmcnt(0)
	global_load_dword v2, v[0:1], off
	s_waitcnt vmcnt(0)
	v_cvt_f64_i32_e32 v[2:3], v2
.LBB8_955:
	s_mov_b64 s[8:9], 0
.LBB8_956:
	s_andn2_b64 vcc, exec, s[8:9]
	s_cbranch_vccnz .LBB8_958
; %bb.957:
	s_waitcnt vmcnt(0)
	global_load_sshort v2, v[0:1], off
	s_waitcnt vmcnt(0)
	v_cvt_f64_i32_e32 v[2:3], v2
.LBB8_958:
	s_cbranch_execnz .LBB8_964
.LBB8_959:
	s_sext_i32_i16 s8, s86
	s_cmp_gt_i32 s8, 0
	s_cbranch_scc0 .LBB8_961
; %bb.960:
	s_waitcnt vmcnt(0)
	global_load_sbyte v2, v[0:1], off
	s_mov_b64 s[8:9], 0
	s_waitcnt vmcnt(0)
	v_cvt_f64_i32_e32 v[2:3], v2
	s_branch .LBB8_962
.LBB8_961:
	s_mov_b64 s[8:9], -1
                                        ; implicit-def: $vgpr2_vgpr3
.LBB8_962:
	s_andn2_b64 vcc, exec, s[8:9]
	s_cbranch_vccnz .LBB8_964
; %bb.963:
	s_waitcnt vmcnt(0)
	global_load_ubyte v0, v[0:1], off
	s_waitcnt vmcnt(0)
	v_cvt_f64_u32_e32 v[2:3], v0
.LBB8_964:
	s_or_b64 s[4:5], s[4:5], exec
.LBB8_965:
	s_or_b64 exec, exec, s[6:7]
	s_mov_b64 s[8:9], 0
	s_mov_b64 s[6:7], 0
                                        ; implicit-def: $sgpr14
                                        ; implicit-def: $vgpr4_vgpr5
                                        ; implicit-def: $vgpr0_vgpr1
	s_and_saveexec_b64 s[44:45], s[4:5]
	s_cbranch_execz .LBB8_973
; %bb.966:
	s_getpc_b64 s[4:5]
	s_add_u32 s4, s4, _ZZZZN2at6native12_GLOBAL__N_121bessel_j1_kernel_cudaERNS_18TensorIteratorBaseEENKUlvE_clEvENKUlvE_clEvENKUldE_clEd@rel32@lo+4
	s_addc_u32 s5, s5, _ZZZZN2at6native12_GLOBAL__N_121bessel_j1_kernel_cudaERNS_18TensorIteratorBaseEENKUlvE_clEvENKUlvE_clEvENKUldE_clEd@rel32@hi+12
	s_waitcnt vmcnt(0)
	v_mov_b32_e32 v0, v2
	v_mov_b32_e32 v1, v3
	s_swappc_b64 s[30:31], s[4:5]
	v_mov_b32_e32 v2, s37
	s_and_b32 s14, s85, 0xff
	v_add_co_u32_e32 v4, vcc, s36, v38
	s_cmp_lt_i32 s14, 11
	v_addc_co_u32_e32 v5, vcc, 0, v2, vcc
	s_cbranch_scc1 .LBB8_976
; %bb.967:
	s_and_b32 s15, 0xffff, s14
	s_mov_b64 s[8:9], -1
	s_cmp_gt_i32 s15, 25
	s_mov_b64 s[4:5], s[68:69]
	s_cbranch_scc0 .LBB8_1004
; %bb.968:
	s_mov_b64 s[6:7], -1
	s_cmp_gt_i32 s15, 28
	s_mov_b64 s[4:5], s[68:69]
	s_cbranch_scc0 .LBB8_988
; %bb.969:
	s_cmp_gt_i32 s15, 43
	s_mov_b64 s[4:5], s[68:69]
	s_cbranch_scc0 .LBB8_984
; %bb.970:
	;; [unrolled: 4-line block ×3, first 2 shown]
	s_cmp_eq_u32 s15, 46
	s_mov_b64 s[4:5], -1
	s_cbranch_scc0 .LBB8_977
; %bb.972:
	v_cvt_f32_f64_e32 v2, v[0:1]
	s_movk_i32 s4, 0x7fff
	v_mov_b32_e32 v3, 0x7fc0
	s_mov_b64 s[6:7], 0
	v_bfe_u32 v6, v2, 16, 1
	v_cmp_o_f32_e32 vcc, v2, v2
	v_add3_u32 v2, v2, v6, s4
	v_cndmask_b32_sdwa v2, v3, v2, vcc dst_sel:DWORD dst_unused:UNUSED_PAD src0_sel:DWORD src1_sel:WORD_1
	global_store_dword v[4:5], v2, off
	s_mov_b64 s[4:5], 0
	s_branch .LBB8_978
.LBB8_973:
	s_or_b64 exec, exec, s[44:45]
	s_and_saveexec_b64 s[4:5], s[68:69]
	s_cbranch_execnz .LBB8_1046
.LBB8_974:
	s_or_b64 exec, exec, s[4:5]
	s_and_saveexec_b64 s[4:5], s[8:9]
	s_xor_b64 s[4:5], exec, s[4:5]
	s_cbranch_execz .LBB8_1047
.LBB8_975:
	s_waitcnt vmcnt(0)
	v_cmp_neq_f64_e32 vcc, 0, v[0:1]
	v_cndmask_b32_e64 v2, 0, 1, vcc
	global_store_byte v[4:5], v2, off
	s_or_b64 exec, exec, s[4:5]
	s_and_saveexec_b64 s[4:5], s[6:7]
	s_xor_b64 s[4:5], exec, s[4:5]
	s_cbranch_execz .LBB8_1085
	s_branch .LBB8_1048
.LBB8_976:
	s_mov_b64 s[8:9], 0
	s_mov_b64 s[6:7], -1
	s_mov_b64 s[4:5], s[68:69]
	s_branch .LBB8_1045
.LBB8_977:
	s_mov_b64 s[6:7], 0
.LBB8_978:
	s_and_b64 vcc, exec, s[6:7]
	s_cbranch_vccz .LBB8_983
; %bb.979:
	s_cmp_eq_u32 s15, 44
	s_mov_b64 s[4:5], -1
	s_cbranch_scc0 .LBB8_983
; %bb.980:
	v_cvt_f32_f64_e32 v2, v[0:1]
	s_movk_i32 s4, 0xff
	v_mov_b32_e32 v6, 0xff
	v_bfe_u32 v3, v2, 23, 8
	v_cmp_ne_u32_e32 vcc, s4, v3
	s_and_saveexec_b64 s[6:7], vcc
; %bb.981:
	s_mov_b32 s4, 0x3fffff
	v_lshrrev_b32_e32 v6, 23, v2
	v_and_b32_e32 v7, 0x400000, v2
	v_and_or_b32 v2, v2, s4, v3
	v_cmp_ne_u32_e32 vcc, 0, v7
	v_cmp_ne_u32_e64 s[4:5], 0, v2
	s_and_b64 s[4:5], vcc, s[4:5]
	v_cndmask_b32_e64 v2, 0, 1, s[4:5]
	v_add_u32_e32 v6, v6, v2
; %bb.982:
	s_or_b64 exec, exec, s[6:7]
	s_mov_b64 s[4:5], 0
	global_store_byte v[4:5], v6, off
.LBB8_983:
	s_mov_b64 s[6:7], 0
.LBB8_984:
	s_and_b64 vcc, exec, s[6:7]
	s_cbranch_vccz .LBB8_987
; %bb.985:
	s_cmp_eq_u32 s15, 29
	s_mov_b64 s[4:5], -1
	s_cbranch_scc0 .LBB8_987
; %bb.986:
	v_trunc_f64_e32 v[2:3], v[0:1]
	s_movk_i32 s4, 0xffe0
	s_mov_b64 s[6:7], 0
	v_ldexp_f64 v[6:7], v[2:3], s4
	s_mov_b32 s4, 0
	s_mov_b32 s5, 0xc1f00000
	v_floor_f64_e32 v[6:7], v[6:7]
	v_fma_f64 v[2:3], v[6:7], s[4:5], v[2:3]
	v_cvt_u32_f64_e32 v7, v[6:7]
	s_mov_b64 s[4:5], 0
	v_cvt_u32_f64_e32 v6, v[2:3]
	global_store_dwordx2 v[4:5], v[6:7], off
	s_branch .LBB8_988
.LBB8_987:
	s_mov_b64 s[6:7], 0
.LBB8_988:
	s_and_b64 vcc, exec, s[6:7]
	s_cbranch_vccz .LBB8_1003
; %bb.989:
	s_cmp_lt_i32 s15, 27
	s_mov_b64 s[6:7], -1
	s_cbranch_scc1 .LBB8_995
; %bb.990:
	s_cmp_gt_i32 s15, 27
	s_cbranch_scc0 .LBB8_992
; %bb.991:
	v_cvt_u32_f64_e32 v2, v[0:1]
	s_mov_b64 s[6:7], 0
	global_store_dword v[4:5], v2, off
.LBB8_992:
	s_andn2_b64 vcc, exec, s[6:7]
	s_cbranch_vccnz .LBB8_994
; %bb.993:
	v_cvt_u32_f64_e32 v2, v[0:1]
	global_store_short v[4:5], v2, off
.LBB8_994:
	s_mov_b64 s[6:7], 0
.LBB8_995:
	s_andn2_b64 vcc, exec, s[6:7]
	s_cbranch_vccnz .LBB8_1003
; %bb.996:
	v_cvt_f32_f64_e32 v2, v[0:1]
	s_mov_b32 s6, 0x43800000
	v_mov_b32_e32 v6, 0x80
	v_and_b32_e32 v3, 0x7fffffff, v2
	v_cmp_gt_u32_e32 vcc, s6, v3
	s_and_saveexec_b64 s[6:7], vcc
	s_cbranch_execz .LBB8_1002
; %bb.997:
	s_mov_b32 s8, 0x3bffffff
	v_cmp_lt_u32_e32 vcc, s8, v3
	s_mov_b64 s[8:9], 0
                                        ; implicit-def: $vgpr3
	s_and_saveexec_b64 s[10:11], vcc
	s_xor_b64 s[10:11], exec, s[10:11]
	s_cbranch_execz .LBB8_1156
; %bb.998:
	v_bfe_u32 v3, v2, 20, 1
	s_mov_b32 s12, 0x487ffff
	v_add3_u32 v3, v2, v3, s12
	s_mov_b64 s[8:9], exec
	v_lshrrev_b32_e32 v3, 20, v3
	s_andn2_saveexec_b64 s[10:11], s[10:11]
	s_cbranch_execnz .LBB8_1157
.LBB8_999:
	s_or_b64 exec, exec, s[10:11]
	v_mov_b32_e32 v6, 0
	s_and_saveexec_b64 s[10:11], s[8:9]
.LBB8_1000:
	v_lshrrev_b32_e32 v2, 24, v2
	s_movk_i32 s8, 0x80
	v_and_or_b32 v6, v2, s8, v3
.LBB8_1001:
	s_or_b64 exec, exec, s[10:11]
.LBB8_1002:
	s_or_b64 exec, exec, s[6:7]
	global_store_byte v[4:5], v6, off
.LBB8_1003:
	s_mov_b64 s[8:9], 0
.LBB8_1004:
	s_mov_b64 s[6:7], 0
	s_and_b64 vcc, exec, s[8:9]
	s_cbranch_vccz .LBB8_1044
; %bb.1005:
	s_cmp_gt_i32 s15, 22
	s_mov_b64 s[8:9], -1
	s_cbranch_scc0 .LBB8_1037
; %bb.1006:
	s_cmp_lt_i32 s15, 24
	s_cbranch_scc1 .LBB8_1026
; %bb.1007:
	s_cmp_gt_i32 s15, 24
	s_cbranch_scc0 .LBB8_1015
; %bb.1008:
	v_cvt_f32_f64_e32 v2, v[0:1]
	s_mov_b32 s8, 0x47800000
	v_mov_b32_e32 v6, 0x80
	v_and_b32_e32 v3, 0x7fffffff, v2
	v_cmp_gt_u32_e32 vcc, s8, v3
	s_and_saveexec_b64 s[8:9], vcc
	s_cbranch_execz .LBB8_1014
; %bb.1009:
	s_mov_b32 s10, 0x37ffffff
	v_cmp_lt_u32_e32 vcc, s10, v3
	s_mov_b64 s[10:11], 0
                                        ; implicit-def: $vgpr3
	s_and_saveexec_b64 s[12:13], vcc
	s_xor_b64 s[12:13], exec, s[12:13]
	s_cbranch_execz .LBB8_1281
; %bb.1010:
	v_bfe_u32 v3, v2, 21, 1
	s_mov_b32 s16, 0x88fffff
	v_add3_u32 v3, v2, v3, s16
	s_mov_b64 s[10:11], exec
	v_lshrrev_b32_e32 v3, 21, v3
	s_andn2_saveexec_b64 s[12:13], s[12:13]
	s_cbranch_execnz .LBB8_1282
.LBB8_1011:
	s_or_b64 exec, exec, s[12:13]
	v_mov_b32_e32 v6, 0
	s_and_saveexec_b64 s[12:13], s[10:11]
.LBB8_1012:
	v_lshrrev_b32_e32 v2, 24, v2
	s_movk_i32 s10, 0x80
	v_and_or_b32 v6, v2, s10, v3
.LBB8_1013:
	s_or_b64 exec, exec, s[12:13]
.LBB8_1014:
	s_or_b64 exec, exec, s[8:9]
	s_mov_b64 s[8:9], 0
	global_store_byte v[4:5], v6, off
.LBB8_1015:
	s_and_b64 vcc, exec, s[8:9]
	s_cbranch_vccz .LBB8_1025
; %bb.1016:
	v_cvt_f32_f64_e32 v2, v[0:1]
	s_mov_b32 s8, 0x43f00000
                                        ; implicit-def: $vgpr3
	v_and_b32_e32 v6, 0x7fffffff, v2
	v_cmp_gt_u32_e32 vcc, s8, v6
	s_and_saveexec_b64 s[8:9], vcc
	s_xor_b64 s[8:9], exec, s[8:9]
	s_cbranch_execz .LBB8_1022
; %bb.1017:
	s_mov_b32 s10, 0x3c7fffff
	v_cmp_lt_u32_e32 vcc, s10, v6
                                        ; implicit-def: $vgpr3
	s_and_saveexec_b64 s[10:11], vcc
	s_xor_b64 s[10:11], exec, s[10:11]
; %bb.1018:
	v_bfe_u32 v3, v2, 20, 1
	s_mov_b32 s12, 0x407ffff
	v_add3_u32 v3, v2, v3, s12
	v_lshrrev_b32_e32 v6, 20, v3
	v_and_b32_e32 v3, 0xff00000, v3
	s_mov_b32 s12, 0x7f00000
	v_mov_b32_e32 v7, 0x7e
	v_cmp_ne_u32_e32 vcc, s12, v3
	v_cndmask_b32_e32 v3, v7, v6, vcc
; %bb.1019:
	s_andn2_saveexec_b64 s[10:11], s[10:11]
; %bb.1020:
	s_mov_b32 s12, 0x46800000
	v_add_f32_e64 v3, |v2|, s12
; %bb.1021:
	s_or_b64 exec, exec, s[10:11]
                                        ; implicit-def: $vgpr6
.LBB8_1022:
	s_andn2_saveexec_b64 s[8:9], s[8:9]
; %bb.1023:
	s_mov_b32 s10, 0x7f800000
	v_mov_b32_e32 v3, 0x7e
	v_mov_b32_e32 v7, 0x7f
	v_cmp_lt_u32_e32 vcc, s10, v6
	v_cndmask_b32_e32 v3, v3, v7, vcc
; %bb.1024:
	s_or_b64 exec, exec, s[8:9]
	v_lshrrev_b32_e32 v2, 24, v2
	s_movk_i32 s8, 0x80
	v_and_or_b32 v2, v2, s8, v3
	global_store_byte v[4:5], v2, off
.LBB8_1025:
	s_mov_b64 s[8:9], 0
.LBB8_1026:
	s_andn2_b64 vcc, exec, s[8:9]
	s_cbranch_vccnz .LBB8_1036
; %bb.1027:
	v_cvt_f32_f64_e32 v2, v[0:1]
	s_mov_b32 s8, 0x47800000
                                        ; implicit-def: $vgpr3
	v_and_b32_e32 v6, 0x7fffffff, v2
	v_cmp_gt_u32_e32 vcc, s8, v6
	s_and_saveexec_b64 s[8:9], vcc
	s_xor_b64 s[8:9], exec, s[8:9]
	s_cbranch_execz .LBB8_1033
; %bb.1028:
	s_mov_b32 s10, 0x387fffff
	v_cmp_lt_u32_e32 vcc, s10, v6
                                        ; implicit-def: $vgpr3
	s_and_saveexec_b64 s[10:11], vcc
	s_xor_b64 s[10:11], exec, s[10:11]
; %bb.1029:
	v_bfe_u32 v3, v2, 21, 1
	s_mov_b32 s12, 0x80fffff
	v_add3_u32 v3, v2, v3, s12
	v_lshrrev_b32_e32 v3, 21, v3
; %bb.1030:
	s_andn2_saveexec_b64 s[10:11], s[10:11]
; %bb.1031:
	s_mov_b32 s12, 0x43000000
	v_add_f32_e64 v3, |v2|, s12
; %bb.1032:
	s_or_b64 exec, exec, s[10:11]
                                        ; implicit-def: $vgpr6
.LBB8_1033:
	s_andn2_saveexec_b64 s[8:9], s[8:9]
; %bb.1034:
	s_mov_b32 s10, 0x7f800000
	v_mov_b32_e32 v3, 0x7c
	v_mov_b32_e32 v7, 0x7f
	v_cmp_lt_u32_e32 vcc, s10, v6
	v_cndmask_b32_e32 v3, v3, v7, vcc
; %bb.1035:
	s_or_b64 exec, exec, s[8:9]
	v_lshrrev_b32_e32 v2, 24, v2
	s_movk_i32 s8, 0x80
	v_and_or_b32 v2, v2, s8, v3
	global_store_byte v[4:5], v2, off
.LBB8_1036:
	s_mov_b64 s[8:9], 0
.LBB8_1037:
	s_andn2_b64 vcc, exec, s[8:9]
	s_mov_b64 s[8:9], 0
	s_cbranch_vccnz .LBB8_1045
; %bb.1038:
	s_cmp_gt_i32 s15, 14
	s_mov_b64 s[10:11], -1
	s_cbranch_scc0 .LBB8_1042
; %bb.1039:
	s_cmp_eq_u32 s15, 15
	s_mov_b64 s[4:5], -1
	s_cbranch_scc0 .LBB8_1041
; %bb.1040:
	v_cvt_f32_f64_e32 v2, v[0:1]
	s_movk_i32 s4, 0x7fff
	v_mov_b32_e32 v3, 0x7fc0
	v_bfe_u32 v6, v2, 16, 1
	v_cmp_o_f32_e32 vcc, v2, v2
	v_add3_u32 v2, v2, v6, s4
	v_cndmask_b32_sdwa v2, v3, v2, vcc dst_sel:DWORD dst_unused:UNUSED_PAD src0_sel:DWORD src1_sel:WORD_1
	global_store_short v[4:5], v2, off
	s_mov_b64 s[4:5], 0
.LBB8_1041:
	s_mov_b64 s[10:11], 0
.LBB8_1042:
	s_and_b64 vcc, exec, s[10:11]
	s_cbranch_vccz .LBB8_1045
; %bb.1043:
	s_cmp_lg_u32 s15, 11
	s_cselect_b64 s[10:11], -1, 0
	s_andn2_b64 s[4:5], s[4:5], exec
	s_and_b64 s[10:11], s[10:11], exec
	s_mov_b64 s[8:9], -1
	s_or_b64 s[4:5], s[4:5], s[10:11]
	s_branch .LBB8_1045
.LBB8_1044:
	s_mov_b64 s[8:9], 0
.LBB8_1045:
	s_andn2_b64 s[10:11], s[68:69], exec
	s_and_b64 s[4:5], s[4:5], exec
	s_and_b64 s[6:7], s[6:7], exec
	;; [unrolled: 1-line block ×3, first 2 shown]
	s_or_b64 s[68:69], s[10:11], s[4:5]
	s_or_b64 exec, exec, s[44:45]
	s_and_saveexec_b64 s[4:5], s[68:69]
	s_cbranch_execz .LBB8_974
.LBB8_1046:
	s_or_b64 s[38:39], s[38:39], exec
	s_andn2_b64 s[8:9], s[8:9], exec
	s_trap 2
	s_or_b64 exec, exec, s[4:5]
	s_and_saveexec_b64 s[4:5], s[8:9]
	s_xor_b64 s[4:5], exec, s[4:5]
	s_cbranch_execnz .LBB8_975
.LBB8_1047:
	s_or_b64 exec, exec, s[4:5]
	s_and_saveexec_b64 s[4:5], s[6:7]
	s_xor_b64 s[4:5], exec, s[4:5]
	s_cbranch_execz .LBB8_1085
.LBB8_1048:
	s_sext_i32_i16 s8, s14
	s_cmp_lt_i32 s8, 5
	s_mov_b64 s[6:7], -1
	s_cbranch_scc1 .LBB8_1069
; %bb.1049:
	s_cmp_lt_i32 s8, 8
	s_cbranch_scc1 .LBB8_1059
; %bb.1050:
	s_cmp_lt_i32 s8, 9
	s_cbranch_scc1 .LBB8_1056
; %bb.1051:
	s_cmp_gt_i32 s8, 9
	s_cbranch_scc0 .LBB8_1053
; %bb.1052:
	s_waitcnt vmcnt(0)
	v_mov_b32_e32 v2, 0
	v_mov_b32_e32 v3, v2
	s_mov_b64 s[6:7], 0
	global_store_dwordx4 v[4:5], v[0:3], off
.LBB8_1053:
	s_andn2_b64 vcc, exec, s[6:7]
	s_cbranch_vccnz .LBB8_1055
; %bb.1054:
	s_waitcnt vmcnt(0)
	v_cvt_f32_f64_e32 v2, v[0:1]
	v_mov_b32_e32 v3, 0
	global_store_dwordx2 v[4:5], v[2:3], off
.LBB8_1055:
	s_mov_b64 s[6:7], 0
.LBB8_1056:
	s_andn2_b64 vcc, exec, s[6:7]
	s_cbranch_vccnz .LBB8_1058
; %bb.1057:
	s_movk_i32 s6, 0x1ff
	s_waitcnt vmcnt(0)
	v_and_or_b32 v2, v1, s6, v0
	v_cmp_ne_u32_e32 vcc, 0, v2
	v_cndmask_b32_e64 v2, 0, 1, vcc
	v_lshrrev_b32_e32 v3, 8, v1
	s_movk_i32 s6, 0xffe
	v_bfe_u32 v6, v1, 20, 11
	v_and_or_b32 v2, v3, s6, v2
	v_sub_u32_e32 v7, 0x3f1, v6
	v_or_b32_e32 v3, 0x1000, v2
	v_med3_i32 v7, v7, 0, 13
	v_lshrrev_b32_e32 v8, v7, v3
	v_lshlrev_b32_e32 v7, v7, v8
	v_cmp_ne_u32_e32 vcc, v7, v3
	v_cndmask_b32_e64 v3, 0, 1, vcc
	v_add_u32_e32 v6, 0xfffffc10, v6
	v_or_b32_e32 v3, v8, v3
	v_lshl_or_b32 v7, v6, 12, v2
	v_cmp_gt_i32_e32 vcc, 1, v6
	v_cndmask_b32_e32 v3, v7, v3, vcc
	v_and_b32_e32 v7, 7, v3
	v_cmp_lt_i32_e32 vcc, 5, v7
	v_cndmask_b32_e64 v8, 0, 1, vcc
	v_cmp_eq_u32_e32 vcc, 3, v7
	v_cndmask_b32_e64 v7, 0, 1, vcc
	v_or_b32_e32 v7, v7, v8
	v_lshrrev_b32_e32 v3, 2, v3
	v_add_u32_e32 v3, v3, v7
	v_mov_b32_e32 v7, 0x7c00
	v_cmp_gt_i32_e32 vcc, 31, v6
	v_cndmask_b32_e32 v3, v7, v3, vcc
	v_mov_b32_e32 v8, 0x7e00
	v_cmp_ne_u32_e32 vcc, 0, v2
	s_movk_i32 s6, 0x40f
	v_cndmask_b32_e32 v2, v7, v8, vcc
	v_cmp_eq_u32_e32 vcc, s6, v6
	v_cndmask_b32_e32 v2, v3, v2, vcc
	v_lshrrev_b32_e32 v3, 16, v1
	s_mov_b32 s6, 0x8000
	v_and_or_b32 v2, v3, s6, v2
	v_and_b32_e32 v2, 0xffff, v2
	global_store_dword v[4:5], v2, off
.LBB8_1058:
	s_mov_b64 s[6:7], 0
.LBB8_1059:
	s_andn2_b64 vcc, exec, s[6:7]
	s_cbranch_vccnz .LBB8_1068
; %bb.1060:
	s_sext_i32_i16 s8, s14
	s_cmp_lt_i32 s8, 6
	s_mov_b64 s[6:7], -1
	s_cbranch_scc1 .LBB8_1066
; %bb.1061:
	s_cmp_gt_i32 s8, 6
	s_cbranch_scc0 .LBB8_1063
; %bb.1062:
	s_mov_b64 s[6:7], 0
	s_waitcnt vmcnt(0)
	global_store_dwordx2 v[4:5], v[0:1], off
.LBB8_1063:
	s_andn2_b64 vcc, exec, s[6:7]
	s_cbranch_vccnz .LBB8_1065
; %bb.1064:
	s_waitcnt vmcnt(0)
	v_cvt_f32_f64_e32 v2, v[0:1]
	global_store_dword v[4:5], v2, off
.LBB8_1065:
	s_mov_b64 s[6:7], 0
.LBB8_1066:
	s_andn2_b64 vcc, exec, s[6:7]
	s_cbranch_vccnz .LBB8_1068
; %bb.1067:
	s_movk_i32 s6, 0x1ff
	s_waitcnt vmcnt(0)
	v_and_or_b32 v2, v1, s6, v0
	v_cmp_ne_u32_e32 vcc, 0, v2
	v_cndmask_b32_e64 v2, 0, 1, vcc
	v_lshrrev_b32_e32 v3, 8, v1
	s_movk_i32 s6, 0xffe
	v_bfe_u32 v6, v1, 20, 11
	v_and_or_b32 v2, v3, s6, v2
	v_sub_u32_e32 v7, 0x3f1, v6
	v_or_b32_e32 v3, 0x1000, v2
	v_med3_i32 v7, v7, 0, 13
	v_lshrrev_b32_e32 v8, v7, v3
	v_lshlrev_b32_e32 v7, v7, v8
	v_cmp_ne_u32_e32 vcc, v7, v3
	v_cndmask_b32_e64 v3, 0, 1, vcc
	v_add_u32_e32 v6, 0xfffffc10, v6
	v_or_b32_e32 v3, v8, v3
	v_lshl_or_b32 v7, v6, 12, v2
	v_cmp_gt_i32_e32 vcc, 1, v6
	v_cndmask_b32_e32 v3, v7, v3, vcc
	v_and_b32_e32 v7, 7, v3
	v_cmp_lt_i32_e32 vcc, 5, v7
	v_cndmask_b32_e64 v8, 0, 1, vcc
	v_cmp_eq_u32_e32 vcc, 3, v7
	v_cndmask_b32_e64 v7, 0, 1, vcc
	v_or_b32_e32 v7, v7, v8
	v_lshrrev_b32_e32 v3, 2, v3
	v_add_u32_e32 v3, v3, v7
	v_mov_b32_e32 v7, 0x7c00
	v_cmp_gt_i32_e32 vcc, 31, v6
	v_cndmask_b32_e32 v3, v7, v3, vcc
	v_mov_b32_e32 v8, 0x7e00
	v_cmp_ne_u32_e32 vcc, 0, v2
	s_movk_i32 s6, 0x40f
	v_cndmask_b32_e32 v2, v7, v8, vcc
	v_cmp_eq_u32_e32 vcc, s6, v6
	v_cndmask_b32_e32 v2, v3, v2, vcc
	v_lshrrev_b32_e32 v3, 16, v1
	s_mov_b32 s6, 0x8000
	v_and_or_b32 v2, v3, s6, v2
	global_store_short v[4:5], v2, off
.LBB8_1068:
	s_mov_b64 s[6:7], 0
.LBB8_1069:
	s_andn2_b64 vcc, exec, s[6:7]
	s_cbranch_vccnz .LBB8_1085
; %bb.1070:
	s_sext_i32_i16 s8, s14
	s_cmp_lt_i32 s8, 2
	s_mov_b64 s[6:7], -1
	s_cbranch_scc1 .LBB8_1080
; %bb.1071:
	s_cmp_lt_i32 s8, 3
	s_cbranch_scc1 .LBB8_1077
; %bb.1072:
	s_cmp_gt_i32 s8, 3
	s_cbranch_scc0 .LBB8_1074
; %bb.1073:
	s_waitcnt vmcnt(0)
	v_trunc_f64_e32 v[2:3], v[0:1]
	s_movk_i32 s6, 0xffe0
	v_ldexp_f64 v[6:7], v[2:3], s6
	s_mov_b32 s6, 0
	s_mov_b32 s7, 0xc1f00000
	v_floor_f64_e32 v[6:7], v[6:7]
	v_fma_f64 v[2:3], v[6:7], s[6:7], v[2:3]
	v_cvt_i32_f64_e32 v7, v[6:7]
	s_mov_b64 s[6:7], 0
	v_cvt_u32_f64_e32 v6, v[2:3]
	global_store_dwordx2 v[4:5], v[6:7], off
.LBB8_1074:
	s_andn2_b64 vcc, exec, s[6:7]
	s_cbranch_vccnz .LBB8_1076
; %bb.1075:
	s_waitcnt vmcnt(0)
	v_cvt_i32_f64_e32 v2, v[0:1]
	global_store_dword v[4:5], v2, off
.LBB8_1076:
	s_mov_b64 s[6:7], 0
.LBB8_1077:
	s_andn2_b64 vcc, exec, s[6:7]
	s_cbranch_vccnz .LBB8_1079
; %bb.1078:
	s_waitcnt vmcnt(0)
	v_cvt_i32_f64_e32 v2, v[0:1]
	global_store_short v[4:5], v2, off
.LBB8_1079:
	s_mov_b64 s[6:7], 0
.LBB8_1080:
	s_andn2_b64 vcc, exec, s[6:7]
	s_cbranch_vccnz .LBB8_1085
; %bb.1081:
	s_sext_i32_i16 s6, s14
	s_cmp_gt_i32 s6, 0
	s_mov_b64 s[6:7], -1
	s_cbranch_scc0 .LBB8_1083
; %bb.1082:
	s_waitcnt vmcnt(0)
	v_cvt_i32_f64_e32 v2, v[0:1]
	s_mov_b64 s[6:7], 0
	global_store_byte v[4:5], v2, off
.LBB8_1083:
	s_andn2_b64 vcc, exec, s[6:7]
	s_cbranch_vccnz .LBB8_1085
; %bb.1084:
	s_waitcnt vmcnt(0)
	v_trunc_f64_e32 v[0:1], v[0:1]
	s_movk_i32 s6, 0xffe0
	v_ldexp_f64 v[2:3], v[0:1], s6
	s_mov_b32 s6, 0
	s_mov_b32 s7, 0xc1f00000
	v_floor_f64_e32 v[2:3], v[2:3]
	v_fma_f64 v[0:1], v[2:3], s[6:7], v[0:1]
	v_cvt_u32_f64_e32 v0, v[0:1]
	global_store_byte v[4:5], v0, off
.LBB8_1085:
	s_or_b64 exec, exec, s[4:5]
	s_and_b64 s[44:45], s[38:39], exec
                                        ; implicit-def: $vgpr8
                                        ; implicit-def: $vgpr40
.LBB8_1086:
	s_or_saveexec_b64 s[46:47], s[58:59]
	s_mov_b64 s[4:5], 0
                                        ; implicit-def: $vgpr4_vgpr5
                                        ; implicit-def: $sgpr38
                                        ; implicit-def: $vgpr0_vgpr1
	s_xor_b64 exec, exec, s[46:47]
	s_cbranch_execz .LBB8_2090
; %bb.1087:
	s_waitcnt vmcnt(0)
	v_cndmask_b32_e64 v0, 0, 1, s[56:57]
	v_cmp_ne_u32_e64 s[4:5], 1, v0
	s_andn2_b64 vcc, exec, s[56:57]
	s_cbranch_vccnz .LBB8_1093
; %bb.1088:
	s_cmp_lg_u32 s33, 0
	s_mov_b32 s30, 0
	s_cbranch_scc0 .LBB8_1094
; %bb.1089:
	s_min_u32 s31, s84, 15
	s_add_i32 s31, s31, 1
	s_cmp_eq_u32 s84, 2
	s_cbranch_scc1 .LBB8_1095
; %bb.1090:
	s_and_b32 s30, s31, 28
	s_add_u32 s6, s52, 0xc4
	s_addc_u32 s7, s53, 0
	v_mov_b32_e32 v0, 0
	s_mov_b32 s36, 0
	s_mov_b64 s[28:29], s[52:53]
	v_mov_b32_e32 v50, 0
	v_mov_b32_e32 v1, v40
.LBB8_1091:                             ; =>This Inner Loop Header: Depth=1
	s_load_dwordx8 s[16:23], s[28:29], 0x4
	s_load_dwordx4 s[24:27], s[28:29], 0x24
	s_load_dwordx8 s[8:15], s[6:7], 0x0
	s_add_u32 s28, s28, 48
	s_addc_u32 s29, s29, 0
	s_waitcnt lgkmcnt(0)
	v_mul_hi_u32 v2, s17, v1
	s_add_i32 s36, s36, 4
	s_add_u32 s6, s6, 32
	s_addc_u32 s7, s7, 0
	v_add_u32_e32 v2, v1, v2
	v_lshrrev_b32_e32 v2, s18, v2
	v_mul_lo_u32 v3, v2, s16
	v_mul_hi_u32 v4, s20, v2
	s_cmp_lg_u32 s30, s36
	v_sub_u32_e32 v1, v1, v3
	v_add_u32_e32 v3, v2, v4
	v_mul_lo_u32 v4, v1, s8
	v_mul_lo_u32 v5, v1, s9
	v_lshrrev_b32_e32 v1, s21, v3
	v_mul_lo_u32 v3, v1, s19
	v_mul_hi_u32 v6, s23, v1
	v_sub_u32_e32 v2, v2, v3
	v_add_u32_e32 v3, v1, v6
	v_lshrrev_b32_e32 v3, s24, v3
	v_mul_hi_u32 v7, s26, v3
	v_mul_lo_u32 v9, v3, s22
	v_mul_lo_u32 v6, v2, s10
	;; [unrolled: 1-line block ×3, first 2 shown]
	v_sub_u32_e32 v9, v1, v9
	v_add_u32_e32 v1, v3, v7
	v_lshrrev_b32_e32 v1, s27, v1
	v_mul_lo_u32 v7, v1, s25
	v_mul_lo_u32 v10, v9, s12
	;; [unrolled: 1-line block ×3, first 2 shown]
	v_add3_u32 v4, v4, v50, v6
	v_sub_u32_e32 v3, v3, v7
	v_mul_lo_u32 v7, v3, s14
	v_mul_lo_u32 v3, v3, s15
	v_add3_u32 v0, v5, v0, v2
	v_add3_u32 v50, v10, v4, v7
	;; [unrolled: 1-line block ×3, first 2 shown]
	s_cbranch_scc1 .LBB8_1091
; %bb.1092:
	s_and_b32 s10, s31, 3
	s_cmp_eq_u32 s10, 0
	s_cbranch_scc0 .LBB8_1096
	s_branch .LBB8_1098
.LBB8_1093:
                                        ; implicit-def: $vgpr50
                                        ; implicit-def: $vgpr0
	s_branch .LBB8_1099
.LBB8_1094:
	v_mov_b32_e32 v50, 0
	v_mov_b32_e32 v0, 0
	s_branch .LBB8_1098
.LBB8_1095:
	v_mov_b32_e32 v50, 0
	v_mov_b32_e32 v0, 0
	;; [unrolled: 1-line block ×3, first 2 shown]
	s_and_b32 s10, s31, 3
	s_cmp_eq_u32 s10, 0
	s_cbranch_scc1 .LBB8_1098
.LBB8_1096:
	s_lshl_b32 s6, s30, 3
	s_add_u32 s6, s52, s6
	s_addc_u32 s7, s53, 0
	s_add_u32 s6, s6, 0xc4
	s_addc_u32 s7, s7, 0
	s_mul_i32 s8, s30, 12
	s_add_u32 s8, s52, s8
	s_addc_u32 s9, s53, 0
.LBB8_1097:                             ; =>This Inner Loop Header: Depth=1
	s_load_dwordx2 s[12:13], s[8:9], 0x4
	s_load_dword s11, s[8:9], 0xc
	s_load_dwordx2 s[14:15], s[6:7], 0x0
	s_add_u32 s8, s8, 12
	s_addc_u32 s9, s9, 0
	s_waitcnt lgkmcnt(0)
	v_mul_hi_u32 v2, s13, v1
	s_add_u32 s6, s6, 8
	s_addc_u32 s7, s7, 0
	s_add_i32 s10, s10, -1
	v_add_u32_e32 v2, v1, v2
	v_lshrrev_b32_e32 v2, s11, v2
	v_mul_lo_u32 v3, v2, s12
	s_cmp_lg_u32 s10, 0
	v_sub_u32_e32 v1, v1, v3
	v_mad_u64_u32 v[50:51], s[12:13], v1, s14, v[50:51]
	v_mad_u64_u32 v[0:1], s[12:13], v1, s15, v[0:1]
	v_mov_b32_e32 v1, v2
	s_cbranch_scc1 .LBB8_1097
.LBB8_1098:
	s_cbranch_execnz .LBB8_1101
.LBB8_1099:
	s_load_dwordx4 s[8:11], s[52:53], 0x4
	s_load_dwordx2 s[6:7], s[52:53], 0xc4
	s_cmp_lt_u32 s33, 2
	s_waitcnt lgkmcnt(0)
	v_mul_hi_u32 v0, s9, v40
	v_add_u32_e32 v0, v40, v0
	v_lshrrev_b32_e32 v1, s10, v0
	v_mul_lo_u32 v0, v1, s8
	v_sub_u32_e32 v0, v40, v0
	v_mul_lo_u32 v50, v0, s6
	v_mul_lo_u32 v0, v0, s7
	s_cbranch_scc1 .LBB8_1101
; %bb.1100:
	s_load_dwordx4 s[8:11], s[52:53], 0x10
	s_load_dwordx2 s[6:7], s[52:53], 0xcc
	s_waitcnt lgkmcnt(0)
	v_mul_hi_u32 v2, s9, v1
	v_add_u32_e32 v2, v1, v2
	v_lshrrev_b32_e32 v2, s10, v2
	v_mul_lo_u32 v2, v2, s8
	v_sub_u32_e32 v1, v1, v2
	v_mad_u64_u32 v[50:51], s[8:9], v1, s6, v[50:51]
	v_mad_u64_u32 v[0:1], s[6:7], v1, s7, v[0:1]
.LBB8_1101:
	s_and_b64 vcc, exec, s[4:5]
	v_add_u32_e32 v1, 0x80, v40
	s_cbranch_vccnz .LBB8_1107
; %bb.1102:
	s_cmp_lg_u32 s33, 0
	s_mov_b32 s30, 0
	s_cbranch_scc0 .LBB8_1108
; %bb.1103:
	s_min_u32 s31, s84, 15
	s_add_i32 s31, s31, 1
	s_cmp_eq_u32 s84, 2
	s_cbranch_scc1 .LBB8_1109
; %bb.1104:
	s_and_b32 s30, s31, 28
	s_add_u32 s6, s52, 0xc4
	s_addc_u32 s7, s53, 0
	v_mov_b32_e32 v6, 0
	s_mov_b32 s36, 0
	s_mov_b64 s[28:29], s[52:53]
	v_mov_b32_e32 v48, 0
	v_mov_b32_e32 v2, v1
.LBB8_1105:                             ; =>This Inner Loop Header: Depth=1
	s_load_dwordx8 s[16:23], s[28:29], 0x4
	s_load_dwordx4 s[24:27], s[28:29], 0x24
	s_load_dwordx8 s[8:15], s[6:7], 0x0
	s_add_u32 s28, s28, 48
	s_addc_u32 s29, s29, 0
	s_waitcnt lgkmcnt(0)
	v_mul_hi_u32 v3, s17, v2
	s_add_i32 s36, s36, 4
	s_add_u32 s6, s6, 32
	s_addc_u32 s7, s7, 0
	v_add_u32_e32 v3, v2, v3
	v_lshrrev_b32_e32 v3, s18, v3
	v_mul_lo_u32 v4, v3, s16
	v_mul_hi_u32 v5, s20, v3
	s_cmp_lg_u32 s30, s36
	v_sub_u32_e32 v2, v2, v4
	v_add_u32_e32 v4, v3, v5
	v_mul_lo_u32 v5, v2, s8
	v_mul_lo_u32 v7, v2, s9
	v_lshrrev_b32_e32 v2, s21, v4
	v_mul_lo_u32 v4, v2, s19
	v_mul_hi_u32 v9, s23, v2
	v_sub_u32_e32 v3, v3, v4
	v_add_u32_e32 v4, v2, v9
	v_lshrrev_b32_e32 v4, s24, v4
	v_mul_hi_u32 v10, s26, v4
	v_mul_lo_u32 v11, v4, s22
	v_mul_lo_u32 v9, v3, s10
	;; [unrolled: 1-line block ×3, first 2 shown]
	v_sub_u32_e32 v11, v2, v11
	v_add_u32_e32 v2, v4, v10
	v_lshrrev_b32_e32 v2, s27, v2
	v_mul_lo_u32 v10, v2, s25
	v_mul_lo_u32 v12, v11, s12
	;; [unrolled: 1-line block ×3, first 2 shown]
	v_add3_u32 v5, v5, v48, v9
	v_sub_u32_e32 v4, v4, v10
	v_mul_lo_u32 v10, v4, s14
	v_mul_lo_u32 v4, v4, s15
	v_add3_u32 v3, v7, v6, v3
	v_add3_u32 v48, v12, v5, v10
	;; [unrolled: 1-line block ×3, first 2 shown]
	s_cbranch_scc1 .LBB8_1105
; %bb.1106:
	s_and_b32 s10, s31, 3
	s_cmp_eq_u32 s10, 0
	s_cbranch_scc0 .LBB8_1110
	s_branch .LBB8_1112
.LBB8_1107:
                                        ; implicit-def: $vgpr48
                                        ; implicit-def: $vgpr6
	s_branch .LBB8_1113
.LBB8_1108:
	v_mov_b32_e32 v48, 0
	v_mov_b32_e32 v6, 0
	s_branch .LBB8_1112
.LBB8_1109:
	v_mov_b32_e32 v48, 0
	v_mov_b32_e32 v6, 0
	;; [unrolled: 1-line block ×3, first 2 shown]
	s_and_b32 s10, s31, 3
	s_cmp_eq_u32 s10, 0
	s_cbranch_scc1 .LBB8_1112
.LBB8_1110:
	s_lshl_b32 s6, s30, 3
	s_add_u32 s6, s52, s6
	s_addc_u32 s7, s53, 0
	s_add_u32 s6, s6, 0xc4
	s_addc_u32 s7, s7, 0
	s_mul_i32 s8, s30, 12
	s_add_u32 s8, s52, s8
	s_addc_u32 s9, s53, 0
.LBB8_1111:                             ; =>This Inner Loop Header: Depth=1
	s_load_dwordx2 s[12:13], s[8:9], 0x4
	s_load_dword s11, s[8:9], 0xc
	s_load_dwordx2 s[14:15], s[6:7], 0x0
	s_add_u32 s8, s8, 12
	s_addc_u32 s9, s9, 0
	s_waitcnt lgkmcnt(0)
	v_mul_hi_u32 v3, s13, v2
	s_add_u32 s6, s6, 8
	s_addc_u32 s7, s7, 0
	s_add_i32 s10, s10, -1
	v_add_u32_e32 v3, v2, v3
	v_lshrrev_b32_e32 v3, s11, v3
	v_mul_lo_u32 v4, v3, s12
	s_cmp_lg_u32 s10, 0
	v_sub_u32_e32 v2, v2, v4
	v_mad_u64_u32 v[48:49], s[12:13], v2, s14, v[48:49]
	v_mad_u64_u32 v[6:7], s[12:13], v2, s15, v[6:7]
	v_mov_b32_e32 v2, v3
	s_cbranch_scc1 .LBB8_1111
.LBB8_1112:
	s_cbranch_execnz .LBB8_1115
.LBB8_1113:
	s_load_dwordx4 s[8:11], s[52:53], 0x4
	s_load_dwordx2 s[6:7], s[52:53], 0xc4
	s_cmp_lt_u32 s33, 2
	s_waitcnt lgkmcnt(0)
	v_mul_hi_u32 v2, s9, v1
	v_add_u32_e32 v2, v1, v2
	v_lshrrev_b32_e32 v2, s10, v2
	v_mul_lo_u32 v3, v2, s8
	v_sub_u32_e32 v1, v1, v3
	v_mul_lo_u32 v48, v1, s6
	v_mul_lo_u32 v6, v1, s7
	s_cbranch_scc1 .LBB8_1115
; %bb.1114:
	s_load_dwordx4 s[8:11], s[52:53], 0x10
	s_load_dwordx2 s[6:7], s[52:53], 0xcc
	s_waitcnt lgkmcnt(0)
	v_mul_hi_u32 v1, s9, v2
	v_add_u32_e32 v1, v2, v1
	v_lshrrev_b32_e32 v1, s10, v1
	v_mul_lo_u32 v1, v1, s8
	v_sub_u32_e32 v1, v2, v1
	v_mad_u64_u32 v[48:49], s[8:9], v1, s6, v[48:49]
	v_mad_u64_u32 v[6:7], s[6:7], v1, s7, v[6:7]
.LBB8_1115:
	s_and_b64 vcc, exec, s[4:5]
	v_add_u32_e32 v1, 0x100, v40
	s_cbranch_vccnz .LBB8_1121
; %bb.1116:
	s_cmp_lg_u32 s33, 0
	s_mov_b32 s30, 0
	s_cbranch_scc0 .LBB8_1122
; %bb.1117:
	s_min_u32 s31, s84, 15
	s_add_i32 s31, s31, 1
	s_cmp_eq_u32 s84, 2
	s_cbranch_scc1 .LBB8_1123
; %bb.1118:
	s_and_b32 s30, s31, 28
	s_add_u32 s6, s52, 0xc4
	s_addc_u32 s7, s53, 0
	v_mov_b32_e32 v4, 0
	s_mov_b32 s36, 0
	s_mov_b64 s[28:29], s[52:53]
	v_mov_b32_e32 v46, 0
	v_mov_b32_e32 v2, v1
.LBB8_1119:                             ; =>This Inner Loop Header: Depth=1
	s_load_dwordx8 s[16:23], s[28:29], 0x4
	s_load_dwordx4 s[24:27], s[28:29], 0x24
	s_load_dwordx8 s[8:15], s[6:7], 0x0
	s_add_u32 s28, s28, 48
	s_addc_u32 s29, s29, 0
	s_waitcnt lgkmcnt(0)
	v_mul_hi_u32 v3, s17, v2
	s_add_i32 s36, s36, 4
	s_add_u32 s6, s6, 32
	s_addc_u32 s7, s7, 0
	v_add_u32_e32 v3, v2, v3
	v_lshrrev_b32_e32 v3, s18, v3
	v_mul_lo_u32 v5, v3, s16
	v_mul_hi_u32 v7, s20, v3
	s_cmp_lg_u32 s30, s36
	v_sub_u32_e32 v2, v2, v5
	v_add_u32_e32 v5, v3, v7
	v_mul_lo_u32 v7, v2, s8
	v_mul_lo_u32 v9, v2, s9
	v_lshrrev_b32_e32 v2, s21, v5
	v_mul_lo_u32 v5, v2, s19
	v_mul_hi_u32 v10, s23, v2
	v_sub_u32_e32 v3, v3, v5
	v_add_u32_e32 v5, v2, v10
	v_lshrrev_b32_e32 v5, s24, v5
	v_mul_hi_u32 v11, s26, v5
	v_mul_lo_u32 v12, v5, s22
	v_mul_lo_u32 v10, v3, s10
	;; [unrolled: 1-line block ×3, first 2 shown]
	v_sub_u32_e32 v12, v2, v12
	v_add_u32_e32 v2, v5, v11
	v_lshrrev_b32_e32 v2, s27, v2
	v_mul_lo_u32 v11, v2, s25
	v_mul_lo_u32 v13, v12, s12
	;; [unrolled: 1-line block ×3, first 2 shown]
	v_add3_u32 v7, v7, v46, v10
	v_sub_u32_e32 v5, v5, v11
	v_mul_lo_u32 v11, v5, s14
	v_mul_lo_u32 v5, v5, s15
	v_add3_u32 v3, v9, v4, v3
	v_add3_u32 v46, v13, v7, v11
	;; [unrolled: 1-line block ×3, first 2 shown]
	s_cbranch_scc1 .LBB8_1119
; %bb.1120:
	s_and_b32 s10, s31, 3
	s_cmp_eq_u32 s10, 0
	s_cbranch_scc0 .LBB8_1124
	s_branch .LBB8_1126
.LBB8_1121:
                                        ; implicit-def: $vgpr46
                                        ; implicit-def: $vgpr4
	s_branch .LBB8_1127
.LBB8_1122:
	v_mov_b32_e32 v46, 0
	v_mov_b32_e32 v4, 0
	s_branch .LBB8_1126
.LBB8_1123:
	v_mov_b32_e32 v46, 0
	v_mov_b32_e32 v4, 0
	;; [unrolled: 1-line block ×3, first 2 shown]
	s_and_b32 s10, s31, 3
	s_cmp_eq_u32 s10, 0
	s_cbranch_scc1 .LBB8_1126
.LBB8_1124:
	s_lshl_b32 s6, s30, 3
	s_add_u32 s6, s52, s6
	s_addc_u32 s7, s53, 0
	s_add_u32 s6, s6, 0xc4
	s_addc_u32 s7, s7, 0
	s_mul_i32 s8, s30, 12
	s_add_u32 s8, s52, s8
	s_addc_u32 s9, s53, 0
.LBB8_1125:                             ; =>This Inner Loop Header: Depth=1
	s_load_dwordx2 s[12:13], s[8:9], 0x4
	s_load_dword s11, s[8:9], 0xc
	s_load_dwordx2 s[14:15], s[6:7], 0x0
	s_add_u32 s8, s8, 12
	s_addc_u32 s9, s9, 0
	s_waitcnt lgkmcnt(0)
	v_mul_hi_u32 v3, s13, v2
	s_add_u32 s6, s6, 8
	s_addc_u32 s7, s7, 0
	s_add_i32 s10, s10, -1
	v_add_u32_e32 v3, v2, v3
	v_lshrrev_b32_e32 v3, s11, v3
	v_mul_lo_u32 v5, v3, s12
	s_cmp_lg_u32 s10, 0
	v_sub_u32_e32 v2, v2, v5
	v_mad_u64_u32 v[46:47], s[12:13], v2, s14, v[46:47]
	v_mad_u64_u32 v[4:5], s[12:13], v2, s15, v[4:5]
	v_mov_b32_e32 v2, v3
	s_cbranch_scc1 .LBB8_1125
.LBB8_1126:
	s_cbranch_execnz .LBB8_1129
.LBB8_1127:
	s_load_dwordx4 s[8:11], s[52:53], 0x4
	s_load_dwordx2 s[6:7], s[52:53], 0xc4
	s_cmp_lt_u32 s33, 2
	s_waitcnt lgkmcnt(0)
	v_mul_hi_u32 v2, s9, v1
	v_add_u32_e32 v2, v1, v2
	v_lshrrev_b32_e32 v2, s10, v2
	v_mul_lo_u32 v3, v2, s8
	v_sub_u32_e32 v1, v1, v3
	v_mul_lo_u32 v46, v1, s6
	v_mul_lo_u32 v4, v1, s7
	s_cbranch_scc1 .LBB8_1129
; %bb.1128:
	s_load_dwordx4 s[8:11], s[52:53], 0x10
	s_load_dwordx2 s[6:7], s[52:53], 0xcc
	s_waitcnt lgkmcnt(0)
	v_mul_hi_u32 v1, s9, v2
	v_add_u32_e32 v1, v2, v1
	v_lshrrev_b32_e32 v1, s10, v1
	v_mul_lo_u32 v1, v1, s8
	v_sub_u32_e32 v1, v2, v1
	v_mad_u64_u32 v[46:47], s[8:9], v1, s6, v[46:47]
	v_mad_u64_u32 v[4:5], s[6:7], v1, s7, v[4:5]
.LBB8_1129:
	s_and_b64 vcc, exec, s[4:5]
	s_cbranch_vccnz .LBB8_1135
; %bb.1130:
	s_cmp_lg_u32 s33, 0
	s_mov_b32 s28, 0
	s_cbranch_scc0 .LBB8_1136
; %bb.1131:
	s_min_u32 s29, s84, 15
	s_add_i32 s29, s29, 1
	s_cmp_eq_u32 s84, 2
	s_cbranch_scc1 .LBB8_1137
; %bb.1132:
	s_and_b32 s28, s29, 28
	s_add_u32 s24, s52, 0xc4
	s_addc_u32 s25, s53, 0
	v_mov_b32_e32 v2, 0
	s_mov_b32 s30, 0
	s_mov_b64 s[26:27], s[52:53]
	v_mov_b32_e32 v44, 0
	v_mov_b32_e32 v1, v8
.LBB8_1133:                             ; =>This Inner Loop Header: Depth=1
	s_load_dwordx8 s[12:19], s[26:27], 0x4
	s_load_dwordx4 s[20:23], s[26:27], 0x24
	s_load_dwordx8 s[4:11], s[24:25], 0x0
	s_add_u32 s26, s26, 48
	s_addc_u32 s27, s27, 0
	s_waitcnt lgkmcnt(0)
	v_mul_hi_u32 v3, s13, v1
	s_add_i32 s30, s30, 4
	s_add_u32 s24, s24, 32
	s_addc_u32 s25, s25, 0
	v_add_u32_e32 v3, v1, v3
	v_lshrrev_b32_e32 v3, s14, v3
	v_mul_lo_u32 v5, v3, s12
	v_mul_hi_u32 v7, s16, v3
	s_cmp_lg_u32 s28, s30
	v_sub_u32_e32 v1, v1, v5
	v_add_u32_e32 v5, v3, v7
	v_mul_lo_u32 v7, v1, s4
	v_mul_lo_u32 v9, v1, s5
	v_lshrrev_b32_e32 v1, s17, v5
	v_mul_lo_u32 v5, v1, s15
	v_mul_hi_u32 v10, s19, v1
	v_sub_u32_e32 v3, v3, v5
	v_add_u32_e32 v5, v1, v10
	v_lshrrev_b32_e32 v5, s20, v5
	v_mul_hi_u32 v11, s22, v5
	v_mul_lo_u32 v12, v5, s18
	v_mul_lo_u32 v10, v3, s6
	;; [unrolled: 1-line block ×3, first 2 shown]
	v_sub_u32_e32 v12, v1, v12
	v_add_u32_e32 v1, v5, v11
	v_lshrrev_b32_e32 v1, s23, v1
	v_mul_lo_u32 v11, v1, s21
	v_mul_lo_u32 v13, v12, s8
	;; [unrolled: 1-line block ×3, first 2 shown]
	v_add3_u32 v7, v7, v44, v10
	v_sub_u32_e32 v5, v5, v11
	v_mul_lo_u32 v11, v5, s10
	v_mul_lo_u32 v5, v5, s11
	v_add3_u32 v2, v9, v2, v3
	v_add3_u32 v44, v13, v7, v11
	v_add3_u32 v2, v12, v2, v5
	s_cbranch_scc1 .LBB8_1133
; %bb.1134:
	s_and_b32 s8, s29, 3
	s_cmp_eq_u32 s8, 0
	s_cbranch_scc0 .LBB8_1138
	s_branch .LBB8_1140
.LBB8_1135:
                                        ; implicit-def: $vgpr44
                                        ; implicit-def: $vgpr2
	s_branch .LBB8_1141
.LBB8_1136:
	v_mov_b32_e32 v44, 0
	v_mov_b32_e32 v2, 0
	s_branch .LBB8_1140
.LBB8_1137:
	v_mov_b32_e32 v44, 0
	v_mov_b32_e32 v2, 0
	;; [unrolled: 1-line block ×3, first 2 shown]
	s_and_b32 s8, s29, 3
	s_cmp_eq_u32 s8, 0
	s_cbranch_scc1 .LBB8_1140
.LBB8_1138:
	s_lshl_b32 s4, s28, 3
	s_add_u32 s4, s52, s4
	s_addc_u32 s5, s53, 0
	s_add_u32 s4, s4, 0xc4
	s_addc_u32 s5, s5, 0
	s_mul_i32 s6, s28, 12
	s_add_u32 s6, s52, s6
	s_addc_u32 s7, s53, 0
.LBB8_1139:                             ; =>This Inner Loop Header: Depth=1
	s_load_dwordx2 s[10:11], s[6:7], 0x4
	s_load_dword s9, s[6:7], 0xc
	s_load_dwordx2 s[12:13], s[4:5], 0x0
	s_add_u32 s6, s6, 12
	s_addc_u32 s7, s7, 0
	s_waitcnt lgkmcnt(0)
	v_mul_hi_u32 v3, s11, v1
	s_add_u32 s4, s4, 8
	s_addc_u32 s5, s5, 0
	s_add_i32 s8, s8, -1
	v_add_u32_e32 v3, v1, v3
	v_lshrrev_b32_e32 v5, s9, v3
	v_mul_lo_u32 v3, v5, s10
	s_cmp_lg_u32 s8, 0
	v_sub_u32_e32 v1, v1, v3
	v_mad_u64_u32 v[44:45], s[10:11], v1, s12, v[44:45]
	v_mad_u64_u32 v[2:3], s[10:11], v1, s13, v[2:3]
	v_mov_b32_e32 v1, v5
	s_cbranch_scc1 .LBB8_1139
.LBB8_1140:
	s_cbranch_execnz .LBB8_1143
.LBB8_1141:
	s_load_dwordx4 s[4:7], s[52:53], 0x4
	s_load_dwordx2 s[8:9], s[52:53], 0xc4
	s_cmp_lt_u32 s33, 2
	s_waitcnt lgkmcnt(0)
	v_mul_hi_u32 v1, s5, v8
	v_add_u32_e32 v1, v8, v1
	v_lshrrev_b32_e32 v1, s6, v1
	v_mul_lo_u32 v2, v1, s4
	v_sub_u32_e32 v2, v8, v2
	v_mul_lo_u32 v44, v2, s8
	v_mul_lo_u32 v2, v2, s9
	s_cbranch_scc1 .LBB8_1143
; %bb.1142:
	s_load_dwordx4 s[4:7], s[52:53], 0x10
	s_load_dwordx2 s[8:9], s[52:53], 0xcc
	s_waitcnt lgkmcnt(0)
	v_mul_hi_u32 v3, s5, v1
	v_add_u32_e32 v3, v1, v3
	v_lshrrev_b32_e32 v3, s6, v3
	v_mul_lo_u32 v3, v3, s4
	v_sub_u32_e32 v1, v1, v3
	v_mad_u64_u32 v[44:45], s[4:5], v1, s8, v[44:45]
	v_mad_u64_u32 v[2:3], s[4:5], v1, s9, v[2:3]
.LBB8_1143:
	s_load_dwordx4 s[36:39], s[52:53], 0x148
	s_load_dword s33, s[34:35], 0x160
	s_waitcnt lgkmcnt(0)
	v_mov_b32_e32 v1, s39
	s_bfe_u32 s14, s33, 0x80010
	v_add_co_u32_e32 v7, vcc, s38, v0
	s_cmp_lt_i32 s14, 11
	v_addc_co_u32_e32 v8, vcc, 0, v1, vcc
	s_cbranch_scc1 .LBB8_1150
; %bb.1144:
	s_and_b32 s15, 0xffff, s14
	s_cmp_gt_i32 s15, 25
	s_mov_b64 s[6:7], 0
	s_cbranch_scc0 .LBB8_1152
; %bb.1145:
	s_cmp_gt_i32 s15, 28
	s_cbranch_scc0 .LBB8_1153
; %bb.1146:
	s_cmp_gt_i32 s15, 43
	;; [unrolled: 3-line block ×3, first 2 shown]
	s_cbranch_scc0 .LBB8_1155
; %bb.1148:
	s_cmp_eq_u32 s15, 46
	s_mov_b64 s[10:11], 0
	s_cbranch_scc0 .LBB8_1158
; %bb.1149:
	global_load_dword v0, v[7:8], off
	s_mov_b64 s[4:5], 0
	s_mov_b64 s[8:9], -1
	s_waitcnt vmcnt(0)
	v_lshlrev_b32_e32 v0, 16, v0
	v_cvt_f64_f32_e32 v[0:1], v0
	s_branch .LBB8_1159
.LBB8_1150:
	s_mov_b64 s[8:9], 0
                                        ; implicit-def: $vgpr0_vgpr1
	s_mov_b64 s[34:35], s[44:45]
	s_cbranch_execnz .LBB8_1222
.LBB8_1151:
	s_andn2_b64 vcc, exec, s[8:9]
	s_cbranch_vccz .LBB8_1267
	s_branch .LBB8_2088
.LBB8_1152:
	s_mov_b64 s[8:9], 0
	s_mov_b64 s[4:5], 0
                                        ; implicit-def: $vgpr0_vgpr1
	s_cbranch_execnz .LBB8_1189
	s_branch .LBB8_1218
.LBB8_1153:
	s_mov_b64 s[10:11], -1
	s_mov_b64 s[8:9], 0
	s_mov_b64 s[4:5], 0
                                        ; implicit-def: $vgpr0_vgpr1
	s_branch .LBB8_1168
.LBB8_1154:
	s_mov_b64 s[8:9], 0
	s_mov_b64 s[4:5], 0
                                        ; implicit-def: $vgpr0_vgpr1
	s_cbranch_execnz .LBB8_1164
	s_branch .LBB8_1167
.LBB8_1155:
	s_mov_b64 s[10:11], -1
	s_mov_b64 s[8:9], 0
	s_mov_b64 s[4:5], 0
                                        ; implicit-def: $vgpr0_vgpr1
	s_branch .LBB8_1159
.LBB8_1156:
	s_andn2_saveexec_b64 s[10:11], s[10:11]
	s_cbranch_execz .LBB8_999
.LBB8_1157:
	s_mov_b32 s12, 0x46000000
	v_add_f32_e64 v3, |v2|, s12
	v_and_b32_e32 v3, 0xff, v3
	v_cmp_ne_u32_e32 vcc, 0, v3
	s_andn2_b64 s[8:9], s[8:9], exec
	s_and_b64 s[12:13], vcc, exec
	s_or_b64 s[8:9], s[8:9], s[12:13]
	s_or_b64 exec, exec, s[10:11]
	v_mov_b32_e32 v6, 0
	s_and_saveexec_b64 s[10:11], s[8:9]
	s_cbranch_execnz .LBB8_1000
	s_branch .LBB8_1001
.LBB8_1158:
	s_mov_b64 s[4:5], -1
                                        ; implicit-def: $vgpr0_vgpr1
	s_mov_b64 s[8:9], 0
.LBB8_1159:
	s_and_b64 vcc, exec, s[10:11]
	s_cbranch_vccz .LBB8_1162
; %bb.1160:
	s_cmp_eq_u32 s15, 44
	s_cbranch_scc0 .LBB8_1163
; %bb.1161:
	global_load_ubyte v3, v[7:8], off
	s_movk_i32 s8, 0xff
	v_bfrev_b32_e32 v5, 4
	v_mov_b32_e32 v9, 0x7ff80000
	v_bfrev_b32_e32 v10, 28
	s_mov_b64 s[4:5], 0
	s_waitcnt vmcnt(0)
	v_lshlrev_b32_e32 v0, 23, v3
	v_cvt_f64_f32_e32 v[0:1], v0
	v_cmp_ne_u32_e32 vcc, s8, v3
	s_mov_b64 s[8:9], -1
	v_cndmask_b32_e32 v0, v5, v0, vcc
	v_cndmask_b32_e32 v1, v9, v1, vcc
	v_cmp_ne_u32_e32 vcc, 0, v3
	v_cndmask_b32_e32 v1, v10, v1, vcc
	v_cndmask_b32_e32 v0, 0, v0, vcc
.LBB8_1162:
	s_branch .LBB8_1167
.LBB8_1163:
	s_mov_b64 s[4:5], -1
                                        ; implicit-def: $vgpr0_vgpr1
	s_branch .LBB8_1167
.LBB8_1164:
	s_cmp_eq_u32 s15, 29
	s_cbranch_scc0 .LBB8_1166
; %bb.1165:
	global_load_dwordx2 v[0:1], v[7:8], off
	s_mov_b64 s[4:5], 0
	s_mov_b64 s[8:9], -1
	s_mov_b64 s[10:11], 0
	s_waitcnt vmcnt(0)
	v_cvt_f64_u32_e32 v[9:10], v1
	v_cvt_f64_u32_e32 v[0:1], v0
	v_ldexp_f64 v[9:10], v[9:10], 32
	v_add_f64 v[0:1], v[9:10], v[0:1]
	s_branch .LBB8_1168
.LBB8_1166:
	s_mov_b64 s[4:5], -1
                                        ; implicit-def: $vgpr0_vgpr1
.LBB8_1167:
	s_mov_b64 s[10:11], 0
.LBB8_1168:
	s_and_b64 vcc, exec, s[10:11]
	s_cbranch_vccz .LBB8_1188
; %bb.1169:
	s_cmp_lt_i32 s15, 27
	s_cbranch_scc1 .LBB8_1172
; %bb.1170:
	s_cmp_gt_i32 s15, 27
	s_cbranch_scc0 .LBB8_1173
; %bb.1171:
	global_load_dword v0, v[7:8], off
	s_mov_b64 s[8:9], 0
	s_waitcnt vmcnt(0)
	v_cvt_f64_u32_e32 v[0:1], v0
	s_branch .LBB8_1174
.LBB8_1172:
	s_mov_b64 s[8:9], -1
                                        ; implicit-def: $vgpr0_vgpr1
	s_branch .LBB8_1177
.LBB8_1173:
	s_mov_b64 s[8:9], -1
                                        ; implicit-def: $vgpr0_vgpr1
.LBB8_1174:
	s_andn2_b64 vcc, exec, s[8:9]
	s_cbranch_vccnz .LBB8_1176
; %bb.1175:
	global_load_ushort v0, v[7:8], off
	s_waitcnt vmcnt(0)
	v_cvt_f64_u32_e32 v[0:1], v0
.LBB8_1176:
	s_mov_b64 s[8:9], 0
.LBB8_1177:
	s_andn2_b64 vcc, exec, s[8:9]
	s_cbranch_vccnz .LBB8_1187
; %bb.1178:
	global_load_ubyte v3, v[7:8], off
	s_movk_i32 s8, 0x7f
	s_waitcnt vmcnt(0)
	v_cmp_lt_i16_e32 vcc, s8, v3
	s_mov_b64 s[8:9], 0
	s_and_saveexec_b64 s[10:11], vcc
	s_xor_b64 s[10:11], exec, s[10:11]
	s_cbranch_execz .LBB8_1182
; %bb.1179:
	s_movk_i32 s8, 0x80
	v_cmp_eq_u16_e32 vcc, s8, v3
	s_mov_b64 s[8:9], -1
	s_and_saveexec_b64 s[12:13], vcc
; %bb.1180:
	s_xor_b64 s[8:9], exec, -1
; %bb.1181:
	s_or_b64 exec, exec, s[12:13]
	s_and_b64 s[8:9], s[8:9], exec
.LBB8_1182:
	s_or_saveexec_b64 s[10:11], s[10:11]
	v_bfrev_b32_e32 v0, 4
	v_mov_b32_e32 v1, 0x7ff80000
	s_xor_b64 exec, exec, s[10:11]
; %bb.1183:
	v_cmp_ne_u16_e32 vcc, 0, v3
	v_mov_b32_e32 v0, 0
	s_andn2_b64 s[8:9], s[8:9], exec
	s_and_b64 s[12:13], vcc, exec
	v_mov_b32_e32 v1, 0
	s_or_b64 s[8:9], s[8:9], s[12:13]
; %bb.1184:
	s_or_b64 exec, exec, s[10:11]
	s_and_saveexec_b64 s[10:11], s[8:9]
	s_cbranch_execz .LBB8_1186
; %bb.1185:
	v_and_b32_e32 v1, 0xffff, v3
	v_lshlrev_b32_e32 v0, 24, v3
	v_and_b32_e32 v3, 7, v1
	v_ffbh_u32_e32 v9, v3
	v_min_u32_e32 v9, 32, v9
	v_subrev_u32_e32 v10, 28, v9
	v_bfe_u32 v5, v1, 3, 4
	v_lshlrev_b32_e32 v1, v10, v1
	v_sub_u32_e32 v9, 29, v9
	v_and_b32_e32 v1, 7, v1
	v_cmp_eq_u32_e32 vcc, 0, v5
	v_cndmask_b32_e32 v5, v5, v9, vcc
	v_cndmask_b32_e32 v1, v3, v1, vcc
	v_mov_b32_e32 v3, 0x3b800000
	v_lshlrev_b32_e32 v1, 20, v1
	v_and_b32_e32 v0, 0x80000000, v0
	v_lshl_add_u32 v3, v5, 23, v3
	v_or3_b32 v0, v0, v3, v1
	v_cvt_f64_f32_e32 v[0:1], v0
.LBB8_1186:
	s_or_b64 exec, exec, s[10:11]
.LBB8_1187:
	s_mov_b64 s[8:9], -1
.LBB8_1188:
	s_branch .LBB8_1218
.LBB8_1189:
	s_cmp_gt_i32 s15, 22
	s_cbranch_scc0 .LBB8_1201
; %bb.1190:
	s_cmp_lt_i32 s15, 24
	s_cbranch_scc1 .LBB8_1202
; %bb.1191:
	s_cmp_gt_i32 s15, 24
	s_cbranch_scc0 .LBB8_1203
; %bb.1192:
	global_load_ubyte v3, v[7:8], off
	s_movk_i32 s6, 0x7f
	s_waitcnt vmcnt(0)
	v_cmp_lt_i16_e32 vcc, s6, v3
	s_mov_b64 s[6:7], 0
	s_and_saveexec_b64 s[8:9], vcc
	s_xor_b64 s[8:9], exec, s[8:9]
	s_cbranch_execz .LBB8_1196
; %bb.1193:
	s_movk_i32 s6, 0x80
	v_cmp_eq_u16_e32 vcc, s6, v3
	s_mov_b64 s[6:7], -1
	s_and_saveexec_b64 s[10:11], vcc
; %bb.1194:
	s_xor_b64 s[6:7], exec, -1
; %bb.1195:
	s_or_b64 exec, exec, s[10:11]
	s_and_b64 s[6:7], s[6:7], exec
.LBB8_1196:
	s_or_saveexec_b64 s[8:9], s[8:9]
	v_bfrev_b32_e32 v0, 4
	v_mov_b32_e32 v1, 0x7ff80000
	s_xor_b64 exec, exec, s[8:9]
; %bb.1197:
	v_cmp_ne_u16_e32 vcc, 0, v3
	v_mov_b32_e32 v0, 0
	s_andn2_b64 s[6:7], s[6:7], exec
	s_and_b64 s[10:11], vcc, exec
	v_mov_b32_e32 v1, 0
	s_or_b64 s[6:7], s[6:7], s[10:11]
; %bb.1198:
	s_or_b64 exec, exec, s[8:9]
	s_and_saveexec_b64 s[8:9], s[6:7]
	s_cbranch_execz .LBB8_1200
; %bb.1199:
	v_and_b32_e32 v1, 0xffff, v3
	v_lshlrev_b32_e32 v0, 24, v3
	v_and_b32_e32 v3, 3, v1
	v_ffbh_u32_e32 v9, v3
	v_min_u32_e32 v9, 32, v9
	v_subrev_u32_e32 v10, 29, v9
	v_bfe_u32 v5, v1, 2, 5
	v_lshlrev_b32_e32 v1, v10, v1
	v_sub_u32_e32 v9, 30, v9
	v_and_b32_e32 v1, 3, v1
	v_cmp_eq_u32_e32 vcc, 0, v5
	v_cndmask_b32_e32 v5, v5, v9, vcc
	v_cndmask_b32_e32 v1, v3, v1, vcc
	v_mov_b32_e32 v3, 0x37800000
	v_lshlrev_b32_e32 v1, 21, v1
	v_and_b32_e32 v0, 0x80000000, v0
	v_lshl_add_u32 v3, v5, 23, v3
	v_or3_b32 v0, v0, v3, v1
	v_cvt_f64_f32_e32 v[0:1], v0
.LBB8_1200:
	s_or_b64 exec, exec, s[8:9]
	s_mov_b64 s[6:7], 0
	s_branch .LBB8_1204
.LBB8_1201:
                                        ; implicit-def: $vgpr0_vgpr1
	s_mov_b64 s[6:7], 0
	s_branch .LBB8_1210
.LBB8_1202:
	s_mov_b64 s[6:7], -1
                                        ; implicit-def: $vgpr0_vgpr1
	s_branch .LBB8_1207
.LBB8_1203:
	s_mov_b64 s[6:7], -1
                                        ; implicit-def: $vgpr0_vgpr1
.LBB8_1204:
	s_and_b64 vcc, exec, s[6:7]
	s_cbranch_vccz .LBB8_1206
; %bb.1205:
	global_load_ubyte v0, v[7:8], off
	s_mov_b32 s6, 0x7f800000
	s_waitcnt vmcnt(0)
	v_lshlrev_b32_e32 v0, 24, v0
	v_and_b32_e32 v1, 0x7f000000, v0
	v_ffbh_u32_e32 v3, v1
	v_min_u32_e32 v3, 32, v3
	v_sub_u32_e64 v3, v3, 4 clamp
	v_lshlrev_b32_e32 v9, v3, v1
	v_lshlrev_b32_e32 v3, 23, v3
	v_lshrrev_b32_e32 v9, 4, v9
	v_add_u32_e32 v5, 0x1000000, v1
	v_sub_u32_e32 v3, v9, v3
	v_ashrrev_i32_e32 v5, 8, v5
	v_add_u32_e32 v3, 0x3c000000, v3
	v_and_or_b32 v3, v5, s6, v3
	v_cmp_ne_u32_e32 vcc, 0, v1
	v_cndmask_b32_e32 v1, 0, v3, vcc
	s_brev_b32 s6, 1
	v_and_or_b32 v0, v0, s6, v1
	v_cvt_f64_f32_e32 v[0:1], v0
.LBB8_1206:
	s_mov_b64 s[6:7], 0
.LBB8_1207:
	s_andn2_b64 vcc, exec, s[6:7]
	s_cbranch_vccnz .LBB8_1209
; %bb.1208:
	global_load_ubyte v0, v[7:8], off
	s_movk_i32 s6, 0x7f00
	s_brev_b32 s7, 16
	s_waitcnt vmcnt(0)
	v_lshlrev_b16_e32 v1, 8, v0
	v_lshlrev_b32_e32 v0, 25, v0
	v_lshrrev_b32_e32 v3, 4, v0
	v_and_or_b32 v5, v1, s6, 0.5
	v_or_b32_e32 v3, 0x70000000, v3
	v_add_f32_e32 v5, -0.5, v5
	v_mul_f32_e32 v3, 0x7800000, v3
	v_cmp_gt_u32_e32 vcc, s7, v0
	v_bfe_i32 v1, v1, 0, 16
	v_cndmask_b32_e32 v0, v3, v5, vcc
	s_brev_b32 s6, 1
	v_and_or_b32 v0, v1, s6, v0
	v_cvt_f64_f32_e32 v[0:1], v0
.LBB8_1209:
	s_mov_b64 s[8:9], -1
	s_mov_b64 s[6:7], 0
	s_cbranch_execnz .LBB8_1218
.LBB8_1210:
	s_cmp_gt_i32 s15, 14
	s_cbranch_scc0 .LBB8_1213
; %bb.1211:
	s_cmp_eq_u32 s15, 15
	s_cbranch_scc0 .LBB8_1214
; %bb.1212:
	global_load_ushort v0, v[7:8], off
	s_mov_b64 s[4:5], 0
	s_mov_b64 s[8:9], -1
	s_waitcnt vmcnt(0)
	v_lshlrev_b32_e32 v0, 16, v0
	v_cvt_f64_f32_e32 v[0:1], v0
	s_branch .LBB8_1215
.LBB8_1213:
	s_mov_b64 s[10:11], -1
                                        ; implicit-def: $vgpr0_vgpr1
	s_branch .LBB8_1216
.LBB8_1214:
	s_mov_b64 s[4:5], -1
                                        ; implicit-def: $vgpr0_vgpr1
.LBB8_1215:
	s_mov_b64 s[10:11], 0
.LBB8_1216:
	s_and_b64 vcc, exec, s[10:11]
	s_cbranch_vccz .LBB8_1218
; %bb.1217:
	s_cmp_lg_u32 s15, 11
	s_mov_b64 s[6:7], -1
	s_cselect_b64 s[4:5], -1, 0
.LBB8_1218:
	s_and_b64 vcc, exec, s[4:5]
	s_mov_b64 s[34:35], s[44:45]
	s_cbranch_vccnz .LBB8_1279
; %bb.1219:
	s_andn2_b64 vcc, exec, s[6:7]
	s_cbranch_vccnz .LBB8_1221
.LBB8_1220:
	global_load_ubyte v1, v[7:8], off
	v_mov_b32_e32 v3, 0x3ff00000
	v_mov_b32_e32 v0, 0
	s_mov_b64 s[8:9], -1
	s_waitcnt vmcnt(0)
	v_cmp_ne_u16_e32 vcc, 0, v1
	v_cndmask_b32_e32 v1, 0, v3, vcc
.LBB8_1221:
	s_branch .LBB8_1151
.LBB8_1222:
	s_and_b32 s6, 0xffff, s14
	s_cmp_lt_i32 s6, 5
	s_cbranch_scc1 .LBB8_1227
; %bb.1223:
	s_cmp_lt_i32 s6, 8
	s_cbranch_scc1 .LBB8_1228
; %bb.1224:
	s_cmp_lt_i32 s6, 9
	s_cbranch_scc1 .LBB8_1229
; %bb.1225:
	s_cmp_gt_i32 s6, 9
	s_cbranch_scc0 .LBB8_1230
; %bb.1226:
	global_load_dwordx2 v[0:1], v[7:8], off
	s_mov_b64 s[4:5], 0
	s_branch .LBB8_1231
.LBB8_1227:
                                        ; implicit-def: $vgpr0_vgpr1
	s_branch .LBB8_1248
.LBB8_1228:
                                        ; implicit-def: $vgpr0_vgpr1
	s_branch .LBB8_1237
.LBB8_1229:
	s_mov_b64 s[4:5], -1
                                        ; implicit-def: $vgpr0_vgpr1
	s_branch .LBB8_1234
.LBB8_1230:
	s_mov_b64 s[4:5], -1
                                        ; implicit-def: $vgpr0_vgpr1
.LBB8_1231:
	s_andn2_b64 vcc, exec, s[4:5]
	s_cbranch_vccnz .LBB8_1233
; %bb.1232:
	global_load_dword v0, v[7:8], off
	s_waitcnt vmcnt(0)
	v_cvt_f64_f32_e32 v[0:1], v0
.LBB8_1233:
	s_mov_b64 s[4:5], 0
.LBB8_1234:
	s_andn2_b64 vcc, exec, s[4:5]
	s_cbranch_vccnz .LBB8_1236
; %bb.1235:
	global_load_dword v0, v[7:8], off
	s_waitcnt vmcnt(0)
	v_cvt_f32_f16_e32 v0, v0
	v_cvt_f64_f32_e32 v[0:1], v0
.LBB8_1236:
	s_cbranch_execnz .LBB8_1247
.LBB8_1237:
	s_cmp_lt_i32 s6, 6
	s_cbranch_scc1 .LBB8_1240
; %bb.1238:
	s_cmp_gt_i32 s6, 6
	s_cbranch_scc0 .LBB8_1241
; %bb.1239:
	global_load_dwordx2 v[0:1], v[7:8], off
	s_mov_b64 s[4:5], 0
	s_branch .LBB8_1242
.LBB8_1240:
	s_mov_b64 s[4:5], -1
                                        ; implicit-def: $vgpr0_vgpr1
	s_branch .LBB8_1245
.LBB8_1241:
	s_mov_b64 s[4:5], -1
                                        ; implicit-def: $vgpr0_vgpr1
.LBB8_1242:
	s_andn2_b64 vcc, exec, s[4:5]
	s_cbranch_vccnz .LBB8_1244
; %bb.1243:
	global_load_dword v0, v[7:8], off
	s_waitcnt vmcnt(0)
	v_cvt_f64_f32_e32 v[0:1], v0
.LBB8_1244:
	s_mov_b64 s[4:5], 0
.LBB8_1245:
	s_andn2_b64 vcc, exec, s[4:5]
	s_cbranch_vccnz .LBB8_1247
; %bb.1246:
	global_load_ushort v0, v[7:8], off
	s_waitcnt vmcnt(0)
	v_cvt_f32_f16_e32 v0, v0
	v_cvt_f64_f32_e32 v[0:1], v0
.LBB8_1247:
	s_cbranch_execnz .LBB8_1266
.LBB8_1248:
	s_cmp_lt_i32 s6, 2
	s_cbranch_scc1 .LBB8_1252
; %bb.1249:
	s_cmp_lt_i32 s6, 3
	s_cbranch_scc1 .LBB8_1253
; %bb.1250:
	s_cmp_gt_i32 s6, 3
	s_cbranch_scc0 .LBB8_1254
; %bb.1251:
	global_load_dwordx2 v[0:1], v[7:8], off
	s_mov_b64 s[4:5], 0
	s_waitcnt vmcnt(0)
	v_cvt_f64_i32_e32 v[9:10], v1
	v_cvt_f64_u32_e32 v[0:1], v0
	v_ldexp_f64 v[9:10], v[9:10], 32
	v_add_f64 v[0:1], v[9:10], v[0:1]
	s_branch .LBB8_1255
.LBB8_1252:
                                        ; implicit-def: $vgpr0_vgpr1
	s_branch .LBB8_1261
.LBB8_1253:
	s_mov_b64 s[4:5], -1
                                        ; implicit-def: $vgpr0_vgpr1
	s_branch .LBB8_1258
.LBB8_1254:
	s_mov_b64 s[4:5], -1
                                        ; implicit-def: $vgpr0_vgpr1
.LBB8_1255:
	s_andn2_b64 vcc, exec, s[4:5]
	s_cbranch_vccnz .LBB8_1257
; %bb.1256:
	global_load_dword v0, v[7:8], off
	s_waitcnt vmcnt(0)
	v_cvt_f64_i32_e32 v[0:1], v0
.LBB8_1257:
	s_mov_b64 s[4:5], 0
.LBB8_1258:
	s_andn2_b64 vcc, exec, s[4:5]
	s_cbranch_vccnz .LBB8_1260
; %bb.1259:
	global_load_sshort v0, v[7:8], off
	s_waitcnt vmcnt(0)
	v_cvt_f64_i32_e32 v[0:1], v0
.LBB8_1260:
	s_cbranch_execnz .LBB8_1266
.LBB8_1261:
	s_cmp_gt_i32 s6, 0
	s_cbranch_scc0 .LBB8_1263
; %bb.1262:
	global_load_sbyte v0, v[7:8], off
	s_mov_b64 s[4:5], 0
	s_waitcnt vmcnt(0)
	v_cvt_f64_i32_e32 v[0:1], v0
	s_branch .LBB8_1264
.LBB8_1263:
	s_mov_b64 s[4:5], -1
                                        ; implicit-def: $vgpr0_vgpr1
.LBB8_1264:
	s_andn2_b64 vcc, exec, s[4:5]
	s_cbranch_vccnz .LBB8_1266
; %bb.1265:
	global_load_ubyte v0, v[7:8], off
	s_waitcnt vmcnt(0)
	v_cvt_f64_u32_e32 v[0:1], v0
.LBB8_1266:
.LBB8_1267:
	s_lshr_b32 s4, s33, 16
	v_mov_b32_e32 v3, s39
	s_and_b32 s14, s4, 0xff
	v_add_co_u32_e32 v5, vcc, s38, v6
	s_cmp_lt_i32 s14, 11
	v_addc_co_u32_e32 v6, vcc, 0, v3, vcc
	s_cbranch_scc1 .LBB8_1274
; %bb.1268:
	s_and_b32 s15, 0xffff, s14
	s_cmp_gt_i32 s15, 25
	s_mov_b64 s[6:7], 0
	s_cbranch_scc0 .LBB8_1276
; %bb.1269:
	s_cmp_gt_i32 s15, 28
	s_cbranch_scc0 .LBB8_1277
; %bb.1270:
	s_cmp_gt_i32 s15, 43
	;; [unrolled: 3-line block ×3, first 2 shown]
	s_cbranch_scc0 .LBB8_1280
; %bb.1272:
	s_cmp_eq_u32 s15, 46
	s_mov_b64 s[10:11], 0
	s_cbranch_scc0 .LBB8_1283
; %bb.1273:
	global_load_dword v3, v[5:6], off
	s_mov_b64 s[4:5], 0
	s_mov_b64 s[8:9], -1
	s_waitcnt vmcnt(0)
	v_lshlrev_b32_e32 v3, 16, v3
	v_cvt_f64_f32_e32 v[42:43], v3
	s_branch .LBB8_1284
.LBB8_1274:
	s_mov_b64 s[8:9], 0
                                        ; implicit-def: $vgpr42_vgpr43
	s_cbranch_execnz .LBB8_1349
.LBB8_1275:
	s_andn2_b64 vcc, exec, s[8:9]
	s_cbranch_vccnz .LBB8_2088
	s_branch .LBB8_1396
.LBB8_1276:
	s_mov_b64 s[8:9], 0
	s_mov_b64 s[4:5], 0
                                        ; implicit-def: $vgpr42_vgpr43
	s_cbranch_execnz .LBB8_1315
	s_branch .LBB8_1345
.LBB8_1277:
	s_mov_b64 s[10:11], -1
	s_mov_b64 s[8:9], 0
	s_mov_b64 s[4:5], 0
                                        ; implicit-def: $vgpr42_vgpr43
	s_branch .LBB8_1294
.LBB8_1278:
	s_mov_b64 s[10:11], -1
	s_mov_b64 s[8:9], 0
	s_mov_b64 s[4:5], 0
                                        ; implicit-def: $vgpr42_vgpr43
	s_branch .LBB8_1289
.LBB8_1279:
	s_or_b64 s[34:35], s[44:45], exec
	s_trap 2
	s_cbranch_execz .LBB8_1220
	s_branch .LBB8_1221
.LBB8_1280:
	s_mov_b64 s[10:11], -1
	s_mov_b64 s[8:9], 0
	s_mov_b64 s[4:5], 0
                                        ; implicit-def: $vgpr42_vgpr43
	s_branch .LBB8_1284
.LBB8_1281:
	s_andn2_saveexec_b64 s[12:13], s[12:13]
	s_cbranch_execz .LBB8_1011
.LBB8_1282:
	s_mov_b32 s16, 0x42800000
	v_add_f32_e64 v3, |v2|, s16
	v_and_b32_e32 v3, 0xff, v3
	v_cmp_ne_u32_e32 vcc, 0, v3
	s_andn2_b64 s[10:11], s[10:11], exec
	s_and_b64 s[16:17], vcc, exec
	s_or_b64 s[10:11], s[10:11], s[16:17]
	s_or_b64 exec, exec, s[12:13]
	v_mov_b32_e32 v6, 0
	s_and_saveexec_b64 s[12:13], s[10:11]
	s_cbranch_execnz .LBB8_1012
	s_branch .LBB8_1013
.LBB8_1283:
	s_mov_b64 s[4:5], -1
                                        ; implicit-def: $vgpr42_vgpr43
	s_mov_b64 s[8:9], 0
.LBB8_1284:
	s_and_b64 vcc, exec, s[10:11]
	s_cbranch_vccz .LBB8_1288
; %bb.1285:
	s_cmp_eq_u32 s15, 44
	s_cbranch_scc0 .LBB8_1287
; %bb.1286:
	global_load_ubyte v3, v[5:6], off
	s_movk_i32 s8, 0xff
	v_bfrev_b32_e32 v9, 4
	v_mov_b32_e32 v10, 0x7ff80000
	v_bfrev_b32_e32 v11, 28
	s_mov_b64 s[4:5], 0
	s_waitcnt vmcnt(0)
	v_lshlrev_b32_e32 v7, 23, v3
	v_cvt_f64_f32_e32 v[7:8], v7
	v_cmp_ne_u32_e32 vcc, s8, v3
	s_mov_b64 s[8:9], -1
	v_cndmask_b32_e32 v7, v9, v7, vcc
	v_cndmask_b32_e32 v8, v10, v8, vcc
	v_cmp_ne_u32_e32 vcc, 0, v3
	v_cndmask_b32_e32 v43, v11, v8, vcc
	v_cndmask_b32_e32 v42, 0, v7, vcc
	s_branch .LBB8_1288
.LBB8_1287:
	s_mov_b64 s[4:5], -1
                                        ; implicit-def: $vgpr42_vgpr43
.LBB8_1288:
	s_mov_b64 s[10:11], 0
.LBB8_1289:
	s_and_b64 vcc, exec, s[10:11]
	s_cbranch_vccz .LBB8_1293
; %bb.1290:
	s_cmp_eq_u32 s15, 29
	s_cbranch_scc0 .LBB8_1292
; %bb.1291:
	global_load_dwordx2 v[7:8], v[5:6], off
	s_mov_b64 s[4:5], 0
	s_mov_b64 s[8:9], -1
	s_mov_b64 s[10:11], 0
	s_waitcnt vmcnt(0)
	v_cvt_f64_u32_e32 v[8:9], v8
	v_cvt_f64_u32_e32 v[10:11], v7
	v_ldexp_f64 v[8:9], v[8:9], 32
	v_add_f64 v[42:43], v[8:9], v[10:11]
	s_branch .LBB8_1294
.LBB8_1292:
	s_mov_b64 s[4:5], -1
                                        ; implicit-def: $vgpr42_vgpr43
.LBB8_1293:
	s_mov_b64 s[10:11], 0
.LBB8_1294:
	s_and_b64 vcc, exec, s[10:11]
	s_cbranch_vccz .LBB8_1314
; %bb.1295:
	s_cmp_lt_i32 s15, 27
	s_cbranch_scc1 .LBB8_1298
; %bb.1296:
	s_cmp_gt_i32 s15, 27
	s_cbranch_scc0 .LBB8_1299
; %bb.1297:
	global_load_dword v3, v[5:6], off
	s_mov_b64 s[8:9], 0
	s_waitcnt vmcnt(0)
	v_cvt_f64_u32_e32 v[42:43], v3
	s_branch .LBB8_1300
.LBB8_1298:
	s_mov_b64 s[8:9], -1
                                        ; implicit-def: $vgpr42_vgpr43
	s_branch .LBB8_1303
.LBB8_1299:
	s_mov_b64 s[8:9], -1
                                        ; implicit-def: $vgpr42_vgpr43
.LBB8_1300:
	s_andn2_b64 vcc, exec, s[8:9]
	s_cbranch_vccnz .LBB8_1302
; %bb.1301:
	global_load_ushort v3, v[5:6], off
	s_waitcnt vmcnt(0)
	v_cvt_f64_u32_e32 v[42:43], v3
.LBB8_1302:
	s_mov_b64 s[8:9], 0
.LBB8_1303:
	s_andn2_b64 vcc, exec, s[8:9]
	s_cbranch_vccnz .LBB8_1313
; %bb.1304:
	global_load_ubyte v3, v[5:6], off
	s_movk_i32 s8, 0x7f
	s_waitcnt vmcnt(0)
	v_cmp_lt_i16_e32 vcc, s8, v3
	s_mov_b64 s[8:9], 0
	s_and_saveexec_b64 s[10:11], vcc
	s_xor_b64 s[10:11], exec, s[10:11]
	s_cbranch_execz .LBB8_1308
; %bb.1305:
	s_movk_i32 s8, 0x80
	v_cmp_eq_u16_e32 vcc, s8, v3
	s_mov_b64 s[8:9], -1
	s_and_saveexec_b64 s[12:13], vcc
; %bb.1306:
	s_xor_b64 s[8:9], exec, -1
; %bb.1307:
	s_or_b64 exec, exec, s[12:13]
	s_and_b64 s[8:9], s[8:9], exec
.LBB8_1308:
	s_or_saveexec_b64 s[10:11], s[10:11]
	v_bfrev_b32_e32 v42, 4
	v_mov_b32_e32 v43, 0x7ff80000
	s_xor_b64 exec, exec, s[10:11]
; %bb.1309:
	v_cmp_ne_u16_e32 vcc, 0, v3
	v_mov_b32_e32 v42, 0
	s_andn2_b64 s[8:9], s[8:9], exec
	s_and_b64 s[12:13], vcc, exec
	v_mov_b32_e32 v43, 0
	s_or_b64 s[8:9], s[8:9], s[12:13]
; %bb.1310:
	s_or_b64 exec, exec, s[10:11]
	s_and_saveexec_b64 s[10:11], s[8:9]
	s_cbranch_execz .LBB8_1312
; %bb.1311:
	v_lshlrev_b32_e32 v7, 24, v3
	v_and_b32_e32 v3, 0xffff, v3
	v_and_b32_e32 v8, 7, v3
	v_ffbh_u32_e32 v10, v8
	v_min_u32_e32 v10, 32, v10
	v_subrev_u32_e32 v11, 28, v10
	v_bfe_u32 v9, v3, 3, 4
	v_lshlrev_b32_e32 v3, v11, v3
	v_sub_u32_e32 v10, 29, v10
	v_and_b32_e32 v3, 7, v3
	v_cmp_eq_u32_e32 vcc, 0, v9
	v_cndmask_b32_e32 v9, v9, v10, vcc
	v_cndmask_b32_e32 v3, v8, v3, vcc
	v_mov_b32_e32 v8, 0x3b800000
	v_lshlrev_b32_e32 v3, 20, v3
	v_and_b32_e32 v7, 0x80000000, v7
	v_lshl_add_u32 v8, v9, 23, v8
	v_or3_b32 v3, v7, v8, v3
	v_cvt_f64_f32_e32 v[42:43], v3
.LBB8_1312:
	s_or_b64 exec, exec, s[10:11]
.LBB8_1313:
	s_mov_b64 s[8:9], -1
.LBB8_1314:
	s_branch .LBB8_1345
.LBB8_1315:
	s_cmp_gt_i32 s15, 22
	s_cbranch_scc0 .LBB8_1327
; %bb.1316:
	s_cmp_lt_i32 s15, 24
	s_cbranch_scc1 .LBB8_1328
; %bb.1317:
	s_cmp_gt_i32 s15, 24
	s_cbranch_scc0 .LBB8_1329
; %bb.1318:
	global_load_ubyte v3, v[5:6], off
	s_movk_i32 s6, 0x7f
	s_waitcnt vmcnt(0)
	v_cmp_lt_i16_e32 vcc, s6, v3
	s_mov_b64 s[6:7], 0
	s_and_saveexec_b64 s[8:9], vcc
	s_xor_b64 s[8:9], exec, s[8:9]
	s_cbranch_execz .LBB8_1322
; %bb.1319:
	s_movk_i32 s6, 0x80
	v_cmp_eq_u16_e32 vcc, s6, v3
	s_mov_b64 s[6:7], -1
	s_and_saveexec_b64 s[10:11], vcc
; %bb.1320:
	s_xor_b64 s[6:7], exec, -1
; %bb.1321:
	s_or_b64 exec, exec, s[10:11]
	s_and_b64 s[6:7], s[6:7], exec
.LBB8_1322:
	s_or_saveexec_b64 s[8:9], s[8:9]
	v_bfrev_b32_e32 v42, 4
	v_mov_b32_e32 v43, 0x7ff80000
	s_xor_b64 exec, exec, s[8:9]
; %bb.1323:
	v_cmp_ne_u16_e32 vcc, 0, v3
	v_mov_b32_e32 v42, 0
	s_andn2_b64 s[6:7], s[6:7], exec
	s_and_b64 s[10:11], vcc, exec
	v_mov_b32_e32 v43, 0
	s_or_b64 s[6:7], s[6:7], s[10:11]
; %bb.1324:
	s_or_b64 exec, exec, s[8:9]
	s_and_saveexec_b64 s[8:9], s[6:7]
	s_cbranch_execz .LBB8_1326
; %bb.1325:
	v_lshlrev_b32_e32 v7, 24, v3
	v_and_b32_e32 v3, 0xffff, v3
	v_and_b32_e32 v8, 3, v3
	v_ffbh_u32_e32 v10, v8
	v_min_u32_e32 v10, 32, v10
	v_subrev_u32_e32 v11, 29, v10
	v_bfe_u32 v9, v3, 2, 5
	v_lshlrev_b32_e32 v3, v11, v3
	v_sub_u32_e32 v10, 30, v10
	v_and_b32_e32 v3, 3, v3
	v_cmp_eq_u32_e32 vcc, 0, v9
	v_cndmask_b32_e32 v9, v9, v10, vcc
	v_cndmask_b32_e32 v3, v8, v3, vcc
	v_mov_b32_e32 v8, 0x37800000
	v_lshlrev_b32_e32 v3, 21, v3
	v_and_b32_e32 v7, 0x80000000, v7
	v_lshl_add_u32 v8, v9, 23, v8
	v_or3_b32 v3, v7, v8, v3
	v_cvt_f64_f32_e32 v[42:43], v3
.LBB8_1326:
	s_or_b64 exec, exec, s[8:9]
	s_mov_b64 s[6:7], 0
	s_branch .LBB8_1330
.LBB8_1327:
	s_mov_b64 s[6:7], -1
                                        ; implicit-def: $vgpr42_vgpr43
	s_branch .LBB8_1336
.LBB8_1328:
	s_mov_b64 s[6:7], -1
                                        ; implicit-def: $vgpr42_vgpr43
	s_branch .LBB8_1333
.LBB8_1329:
	s_mov_b64 s[6:7], -1
                                        ; implicit-def: $vgpr42_vgpr43
.LBB8_1330:
	s_and_b64 vcc, exec, s[6:7]
	s_cbranch_vccz .LBB8_1332
; %bb.1331:
	global_load_ubyte v3, v[5:6], off
	s_mov_b32 s6, 0x7f800000
	s_waitcnt vmcnt(0)
	v_lshlrev_b32_e32 v3, 24, v3
	v_and_b32_e32 v7, 0x7f000000, v3
	v_ffbh_u32_e32 v8, v7
	v_min_u32_e32 v8, 32, v8
	v_sub_u32_e64 v8, v8, 4 clamp
	v_lshlrev_b32_e32 v10, v8, v7
	v_lshlrev_b32_e32 v8, 23, v8
	v_lshrrev_b32_e32 v10, 4, v10
	v_add_u32_e32 v9, 0x1000000, v7
	v_sub_u32_e32 v8, v10, v8
	v_ashrrev_i32_e32 v9, 8, v9
	v_add_u32_e32 v8, 0x3c000000, v8
	v_and_or_b32 v8, v9, s6, v8
	v_cmp_ne_u32_e32 vcc, 0, v7
	v_cndmask_b32_e32 v7, 0, v8, vcc
	s_brev_b32 s6, 1
	v_and_or_b32 v3, v3, s6, v7
	v_cvt_f64_f32_e32 v[42:43], v3
.LBB8_1332:
	s_mov_b64 s[6:7], 0
.LBB8_1333:
	s_andn2_b64 vcc, exec, s[6:7]
	s_cbranch_vccnz .LBB8_1335
; %bb.1334:
	global_load_ubyte v3, v[5:6], off
	s_movk_i32 s6, 0x7f00
	s_brev_b32 s7, 16
	s_waitcnt vmcnt(0)
	v_lshlrev_b16_e32 v7, 8, v3
	v_lshlrev_b32_e32 v3, 25, v3
	v_lshrrev_b32_e32 v8, 4, v3
	v_and_or_b32 v9, v7, s6, 0.5
	v_or_b32_e32 v8, 0x70000000, v8
	v_add_f32_e32 v9, -0.5, v9
	v_mul_f32_e32 v8, 0x7800000, v8
	v_cmp_gt_u32_e32 vcc, s7, v3
	v_bfe_i32 v7, v7, 0, 16
	v_cndmask_b32_e32 v3, v8, v9, vcc
	s_brev_b32 s6, 1
	v_and_or_b32 v3, v7, s6, v3
	v_cvt_f64_f32_e32 v[42:43], v3
.LBB8_1335:
	s_mov_b64 s[6:7], 0
	s_mov_b64 s[8:9], -1
.LBB8_1336:
	s_andn2_b64 vcc, exec, s[6:7]
	s_mov_b64 s[6:7], 0
	s_cbranch_vccnz .LBB8_1345
; %bb.1337:
	s_cmp_gt_i32 s15, 14
	s_cbranch_scc0 .LBB8_1340
; %bb.1338:
	s_cmp_eq_u32 s15, 15
	s_cbranch_scc0 .LBB8_1341
; %bb.1339:
	global_load_ushort v3, v[5:6], off
	s_mov_b64 s[4:5], 0
	s_mov_b64 s[8:9], -1
	s_waitcnt vmcnt(0)
	v_lshlrev_b32_e32 v3, 16, v3
	v_cvt_f64_f32_e32 v[42:43], v3
	s_branch .LBB8_1342
.LBB8_1340:
	s_mov_b64 s[10:11], -1
                                        ; implicit-def: $vgpr42_vgpr43
	s_branch .LBB8_1343
.LBB8_1341:
	s_mov_b64 s[4:5], -1
                                        ; implicit-def: $vgpr42_vgpr43
.LBB8_1342:
	s_mov_b64 s[10:11], 0
.LBB8_1343:
	s_and_b64 vcc, exec, s[10:11]
	s_cbranch_vccz .LBB8_1345
; %bb.1344:
	s_cmp_lg_u32 s15, 11
	s_mov_b64 s[6:7], -1
	s_cselect_b64 s[4:5], -1, 0
.LBB8_1345:
	s_and_b64 vcc, exec, s[4:5]
	s_cbranch_vccnz .LBB8_1408
; %bb.1346:
	s_andn2_b64 vcc, exec, s[6:7]
	s_cbranch_vccnz .LBB8_1348
.LBB8_1347:
	global_load_ubyte v3, v[5:6], off
	v_mov_b32_e32 v7, 0x3ff00000
	v_mov_b32_e32 v42, 0
	s_mov_b64 s[8:9], -1
	s_waitcnt vmcnt(0)
	v_cmp_ne_u16_e32 vcc, 0, v3
	v_cndmask_b32_e32 v43, 0, v7, vcc
.LBB8_1348:
	s_branch .LBB8_1275
.LBB8_1349:
	s_and_b32 s6, 0xffff, s14
	s_cmp_lt_i32 s6, 5
	s_cbranch_scc1 .LBB8_1354
; %bb.1350:
	s_cmp_lt_i32 s6, 8
	s_cbranch_scc1 .LBB8_1355
; %bb.1351:
	;; [unrolled: 3-line block ×3, first 2 shown]
	s_cmp_gt_i32 s6, 9
	s_cbranch_scc0 .LBB8_1357
; %bb.1353:
	global_load_dwordx2 v[42:43], v[5:6], off
	s_mov_b64 s[4:5], 0
	s_branch .LBB8_1358
.LBB8_1354:
                                        ; implicit-def: $vgpr42_vgpr43
	s_branch .LBB8_1376
.LBB8_1355:
	s_mov_b64 s[4:5], -1
                                        ; implicit-def: $vgpr42_vgpr43
	s_branch .LBB8_1364
.LBB8_1356:
	s_mov_b64 s[4:5], -1
                                        ; implicit-def: $vgpr42_vgpr43
	s_branch .LBB8_1361
.LBB8_1357:
	s_mov_b64 s[4:5], -1
                                        ; implicit-def: $vgpr42_vgpr43
.LBB8_1358:
	s_andn2_b64 vcc, exec, s[4:5]
	s_cbranch_vccnz .LBB8_1360
; %bb.1359:
	global_load_dword v3, v[5:6], off
	s_waitcnt vmcnt(0)
	v_cvt_f64_f32_e32 v[42:43], v3
.LBB8_1360:
	s_mov_b64 s[4:5], 0
.LBB8_1361:
	s_andn2_b64 vcc, exec, s[4:5]
	s_cbranch_vccnz .LBB8_1363
; %bb.1362:
	global_load_dword v3, v[5:6], off
	s_waitcnt vmcnt(0)
	v_cvt_f32_f16_e32 v3, v3
	v_cvt_f64_f32_e32 v[42:43], v3
.LBB8_1363:
	s_mov_b64 s[4:5], 0
.LBB8_1364:
	s_andn2_b64 vcc, exec, s[4:5]
	s_cbranch_vccnz .LBB8_1375
; %bb.1365:
	s_cmp_lt_i32 s6, 6
	s_cbranch_scc1 .LBB8_1368
; %bb.1366:
	s_cmp_gt_i32 s6, 6
	s_cbranch_scc0 .LBB8_1369
; %bb.1367:
	global_load_dwordx2 v[42:43], v[5:6], off
	s_mov_b64 s[4:5], 0
	s_branch .LBB8_1370
.LBB8_1368:
	s_mov_b64 s[4:5], -1
                                        ; implicit-def: $vgpr42_vgpr43
	s_branch .LBB8_1373
.LBB8_1369:
	s_mov_b64 s[4:5], -1
                                        ; implicit-def: $vgpr42_vgpr43
.LBB8_1370:
	s_andn2_b64 vcc, exec, s[4:5]
	s_cbranch_vccnz .LBB8_1372
; %bb.1371:
	global_load_dword v3, v[5:6], off
	s_waitcnt vmcnt(0)
	v_cvt_f64_f32_e32 v[42:43], v3
.LBB8_1372:
	s_mov_b64 s[4:5], 0
.LBB8_1373:
	s_andn2_b64 vcc, exec, s[4:5]
	s_cbranch_vccnz .LBB8_1375
; %bb.1374:
	global_load_ushort v3, v[5:6], off
	s_waitcnt vmcnt(0)
	v_cvt_f32_f16_e32 v3, v3
	v_cvt_f64_f32_e32 v[42:43], v3
.LBB8_1375:
	s_cbranch_execnz .LBB8_1395
.LBB8_1376:
	s_cmp_lt_i32 s6, 2
	s_cbranch_scc1 .LBB8_1380
; %bb.1377:
	s_cmp_lt_i32 s6, 3
	s_cbranch_scc1 .LBB8_1381
; %bb.1378:
	s_cmp_gt_i32 s6, 3
	s_cbranch_scc0 .LBB8_1382
; %bb.1379:
	global_load_dwordx2 v[7:8], v[5:6], off
	s_mov_b64 s[4:5], 0
	s_waitcnt vmcnt(0)
	v_cvt_f64_i32_e32 v[8:9], v8
	v_cvt_f64_u32_e32 v[10:11], v7
	v_ldexp_f64 v[8:9], v[8:9], 32
	v_add_f64 v[42:43], v[8:9], v[10:11]
	s_branch .LBB8_1383
.LBB8_1380:
	s_mov_b64 s[4:5], -1
                                        ; implicit-def: $vgpr42_vgpr43
	s_branch .LBB8_1389
.LBB8_1381:
	s_mov_b64 s[4:5], -1
                                        ; implicit-def: $vgpr42_vgpr43
	s_branch .LBB8_1386
.LBB8_1382:
	s_mov_b64 s[4:5], -1
                                        ; implicit-def: $vgpr42_vgpr43
.LBB8_1383:
	s_andn2_b64 vcc, exec, s[4:5]
	s_cbranch_vccnz .LBB8_1385
; %bb.1384:
	global_load_dword v3, v[5:6], off
	s_waitcnt vmcnt(0)
	v_cvt_f64_i32_e32 v[42:43], v3
.LBB8_1385:
	s_mov_b64 s[4:5], 0
.LBB8_1386:
	s_andn2_b64 vcc, exec, s[4:5]
	s_cbranch_vccnz .LBB8_1388
; %bb.1387:
	global_load_sshort v3, v[5:6], off
	s_waitcnt vmcnt(0)
	v_cvt_f64_i32_e32 v[42:43], v3
.LBB8_1388:
	s_mov_b64 s[4:5], 0
.LBB8_1389:
	s_andn2_b64 vcc, exec, s[4:5]
	s_cbranch_vccnz .LBB8_1395
; %bb.1390:
	s_cmp_gt_i32 s6, 0
	s_cbranch_scc0 .LBB8_1392
; %bb.1391:
	global_load_sbyte v3, v[5:6], off
	s_mov_b64 s[4:5], 0
	s_waitcnt vmcnt(0)
	v_cvt_f64_i32_e32 v[42:43], v3
	s_branch .LBB8_1393
.LBB8_1392:
	s_mov_b64 s[4:5], -1
                                        ; implicit-def: $vgpr42_vgpr43
.LBB8_1393:
	s_andn2_b64 vcc, exec, s[4:5]
	s_cbranch_vccnz .LBB8_1395
; %bb.1394:
	global_load_ubyte v3, v[5:6], off
	s_waitcnt vmcnt(0)
	v_cvt_f64_u32_e32 v[42:43], v3
.LBB8_1395:
.LBB8_1396:
	v_mov_b32_e32 v5, s39
	v_add_co_u32_e32 v3, vcc, s38, v4
	s_cmp_lt_i32 s14, 11
	v_addc_co_u32_e32 v4, vcc, 0, v5, vcc
	s_cbranch_scc1 .LBB8_1403
; %bb.1397:
	s_and_b32 s15, 0xffff, s14
	s_cmp_gt_i32 s15, 25
	s_mov_b64 s[6:7], 0
	s_cbranch_scc0 .LBB8_1405
; %bb.1398:
	s_cmp_gt_i32 s15, 28
	s_cbranch_scc0 .LBB8_1406
; %bb.1399:
	s_cmp_gt_i32 s15, 43
	;; [unrolled: 3-line block ×3, first 2 shown]
	s_cbranch_scc0 .LBB8_1409
; %bb.1401:
	s_cmp_eq_u32 s15, 46
	s_mov_b64 s[10:11], 0
	s_cbranch_scc0 .LBB8_1410
; %bb.1402:
	global_load_dword v5, v[3:4], off
	s_mov_b64 s[4:5], 0
	s_mov_b64 s[8:9], -1
	s_waitcnt vmcnt(0)
	v_lshlrev_b32_e32 v5, 16, v5
	v_cvt_f64_f32_e32 v[40:41], v5
	s_branch .LBB8_1411
.LBB8_1403:
	s_mov_b64 s[8:9], 0
                                        ; implicit-def: $vgpr40_vgpr41
	s_cbranch_execnz .LBB8_1477
.LBB8_1404:
	s_andn2_b64 vcc, exec, s[8:9]
	s_cbranch_vccnz .LBB8_2088
	s_branch .LBB8_1525
.LBB8_1405:
	s_mov_b64 s[10:11], -1
	s_mov_b64 s[8:9], 0
	s_mov_b64 s[4:5], 0
                                        ; implicit-def: $vgpr40_vgpr41
	s_branch .LBB8_1442
.LBB8_1406:
	s_mov_b64 s[10:11], -1
	s_mov_b64 s[8:9], 0
	s_mov_b64 s[4:5], 0
                                        ; implicit-def: $vgpr40_vgpr41
	s_branch .LBB8_1421
.LBB8_1407:
	s_mov_b64 s[10:11], -1
	s_mov_b64 s[8:9], 0
	s_mov_b64 s[4:5], 0
                                        ; implicit-def: $vgpr40_vgpr41
	s_branch .LBB8_1416
.LBB8_1408:
	s_trap 2
	s_or_b64 s[34:35], s[34:35], exec
	s_cbranch_execz .LBB8_1347
	s_branch .LBB8_1348
.LBB8_1409:
	s_mov_b64 s[10:11], -1
	s_mov_b64 s[8:9], 0
	s_mov_b64 s[4:5], 0
                                        ; implicit-def: $vgpr40_vgpr41
	s_branch .LBB8_1411
.LBB8_1410:
	s_mov_b64 s[4:5], -1
                                        ; implicit-def: $vgpr40_vgpr41
	s_mov_b64 s[8:9], 0
.LBB8_1411:
	s_and_b64 vcc, exec, s[10:11]
	s_cbranch_vccz .LBB8_1415
; %bb.1412:
	s_cmp_eq_u32 s15, 44
	s_cbranch_scc0 .LBB8_1414
; %bb.1413:
	global_load_ubyte v7, v[3:4], off
	s_movk_i32 s8, 0xff
	v_bfrev_b32_e32 v8, 4
	v_mov_b32_e32 v9, 0x7ff80000
	v_bfrev_b32_e32 v10, 28
	s_mov_b64 s[4:5], 0
	s_waitcnt vmcnt(0)
	v_lshlrev_b32_e32 v5, 23, v7
	v_cvt_f64_f32_e32 v[5:6], v5
	v_cmp_ne_u32_e32 vcc, s8, v7
	s_mov_b64 s[8:9], -1
	v_cndmask_b32_e32 v5, v8, v5, vcc
	v_cndmask_b32_e32 v6, v9, v6, vcc
	v_cmp_ne_u32_e32 vcc, 0, v7
	v_cndmask_b32_e32 v41, v10, v6, vcc
	v_cndmask_b32_e32 v40, 0, v5, vcc
	s_branch .LBB8_1415
.LBB8_1414:
	s_mov_b64 s[4:5], -1
                                        ; implicit-def: $vgpr40_vgpr41
.LBB8_1415:
	s_mov_b64 s[10:11], 0
.LBB8_1416:
	s_and_b64 vcc, exec, s[10:11]
	s_cbranch_vccz .LBB8_1420
; %bb.1417:
	s_cmp_eq_u32 s15, 29
	s_cbranch_scc0 .LBB8_1419
; %bb.1418:
	global_load_dwordx2 v[5:6], v[3:4], off
	s_mov_b64 s[4:5], 0
	s_mov_b64 s[8:9], -1
	s_mov_b64 s[10:11], 0
	s_waitcnt vmcnt(0)
	v_cvt_f64_u32_e32 v[6:7], v6
	v_cvt_f64_u32_e32 v[8:9], v5
	v_ldexp_f64 v[6:7], v[6:7], 32
	v_add_f64 v[40:41], v[6:7], v[8:9]
	s_branch .LBB8_1421
.LBB8_1419:
	s_mov_b64 s[4:5], -1
                                        ; implicit-def: $vgpr40_vgpr41
.LBB8_1420:
	s_mov_b64 s[10:11], 0
.LBB8_1421:
	s_and_b64 vcc, exec, s[10:11]
	s_cbranch_vccz .LBB8_1441
; %bb.1422:
	s_cmp_lt_i32 s15, 27
	s_cbranch_scc1 .LBB8_1425
; %bb.1423:
	s_cmp_gt_i32 s15, 27
	s_cbranch_scc0 .LBB8_1426
; %bb.1424:
	global_load_dword v5, v[3:4], off
	s_mov_b64 s[8:9], 0
	s_waitcnt vmcnt(0)
	v_cvt_f64_u32_e32 v[40:41], v5
	s_branch .LBB8_1427
.LBB8_1425:
	s_mov_b64 s[8:9], -1
                                        ; implicit-def: $vgpr40_vgpr41
	s_branch .LBB8_1430
.LBB8_1426:
	s_mov_b64 s[8:9], -1
                                        ; implicit-def: $vgpr40_vgpr41
.LBB8_1427:
	s_andn2_b64 vcc, exec, s[8:9]
	s_cbranch_vccnz .LBB8_1429
; %bb.1428:
	global_load_ushort v5, v[3:4], off
	s_waitcnt vmcnt(0)
	v_cvt_f64_u32_e32 v[40:41], v5
.LBB8_1429:
	s_mov_b64 s[8:9], 0
.LBB8_1430:
	s_andn2_b64 vcc, exec, s[8:9]
	s_cbranch_vccnz .LBB8_1440
; %bb.1431:
	global_load_ubyte v5, v[3:4], off
	s_movk_i32 s8, 0x7f
	s_waitcnt vmcnt(0)
	v_cmp_lt_i16_e32 vcc, s8, v5
	s_mov_b64 s[8:9], 0
	s_and_saveexec_b64 s[10:11], vcc
	s_xor_b64 s[10:11], exec, s[10:11]
	s_cbranch_execz .LBB8_1435
; %bb.1432:
	s_movk_i32 s8, 0x80
	v_cmp_eq_u16_e32 vcc, s8, v5
	s_mov_b64 s[8:9], -1
	s_and_saveexec_b64 s[12:13], vcc
; %bb.1433:
	s_xor_b64 s[8:9], exec, -1
; %bb.1434:
	s_or_b64 exec, exec, s[12:13]
	s_and_b64 s[8:9], s[8:9], exec
.LBB8_1435:
	s_or_saveexec_b64 s[10:11], s[10:11]
	v_bfrev_b32_e32 v40, 4
	v_mov_b32_e32 v41, 0x7ff80000
	s_xor_b64 exec, exec, s[10:11]
; %bb.1436:
	v_cmp_ne_u16_e32 vcc, 0, v5
	v_mov_b32_e32 v40, 0
	s_andn2_b64 s[8:9], s[8:9], exec
	s_and_b64 s[12:13], vcc, exec
	v_mov_b32_e32 v41, 0
	s_or_b64 s[8:9], s[8:9], s[12:13]
; %bb.1437:
	s_or_b64 exec, exec, s[10:11]
	s_and_saveexec_b64 s[10:11], s[8:9]
	s_cbranch_execz .LBB8_1439
; %bb.1438:
	v_lshlrev_b32_e32 v6, 24, v5
	v_and_b32_e32 v5, 0xffff, v5
	v_and_b32_e32 v7, 7, v5
	v_ffbh_u32_e32 v9, v7
	v_min_u32_e32 v9, 32, v9
	v_subrev_u32_e32 v10, 28, v9
	v_bfe_u32 v8, v5, 3, 4
	v_lshlrev_b32_e32 v5, v10, v5
	v_sub_u32_e32 v9, 29, v9
	v_and_b32_e32 v5, 7, v5
	v_cmp_eq_u32_e32 vcc, 0, v8
	v_cndmask_b32_e32 v8, v8, v9, vcc
	v_cndmask_b32_e32 v5, v7, v5, vcc
	v_mov_b32_e32 v7, 0x3b800000
	v_lshlrev_b32_e32 v5, 20, v5
	v_and_b32_e32 v6, 0x80000000, v6
	v_lshl_add_u32 v7, v8, 23, v7
	v_or3_b32 v5, v6, v7, v5
	v_cvt_f64_f32_e32 v[40:41], v5
.LBB8_1439:
	s_or_b64 exec, exec, s[10:11]
.LBB8_1440:
	s_mov_b64 s[8:9], -1
.LBB8_1441:
	s_mov_b64 s[10:11], 0
.LBB8_1442:
	s_and_b64 vcc, exec, s[10:11]
	s_cbranch_vccz .LBB8_1473
; %bb.1443:
	s_cmp_gt_i32 s15, 22
	s_cbranch_scc0 .LBB8_1455
; %bb.1444:
	s_cmp_lt_i32 s15, 24
	s_cbranch_scc1 .LBB8_1456
; %bb.1445:
	s_cmp_gt_i32 s15, 24
	s_cbranch_scc0 .LBB8_1457
; %bb.1446:
	global_load_ubyte v5, v[3:4], off
	s_movk_i32 s6, 0x7f
	s_waitcnt vmcnt(0)
	v_cmp_lt_i16_e32 vcc, s6, v5
	s_mov_b64 s[6:7], 0
	s_and_saveexec_b64 s[8:9], vcc
	s_xor_b64 s[8:9], exec, s[8:9]
	s_cbranch_execz .LBB8_1450
; %bb.1447:
	s_movk_i32 s6, 0x80
	v_cmp_eq_u16_e32 vcc, s6, v5
	s_mov_b64 s[6:7], -1
	s_and_saveexec_b64 s[10:11], vcc
; %bb.1448:
	s_xor_b64 s[6:7], exec, -1
; %bb.1449:
	s_or_b64 exec, exec, s[10:11]
	s_and_b64 s[6:7], s[6:7], exec
.LBB8_1450:
	s_or_saveexec_b64 s[8:9], s[8:9]
	v_bfrev_b32_e32 v40, 4
	v_mov_b32_e32 v41, 0x7ff80000
	s_xor_b64 exec, exec, s[8:9]
; %bb.1451:
	v_cmp_ne_u16_e32 vcc, 0, v5
	v_mov_b32_e32 v40, 0
	s_andn2_b64 s[6:7], s[6:7], exec
	s_and_b64 s[10:11], vcc, exec
	v_mov_b32_e32 v41, 0
	s_or_b64 s[6:7], s[6:7], s[10:11]
; %bb.1452:
	s_or_b64 exec, exec, s[8:9]
	s_and_saveexec_b64 s[8:9], s[6:7]
	s_cbranch_execz .LBB8_1454
; %bb.1453:
	v_lshlrev_b32_e32 v6, 24, v5
	v_and_b32_e32 v5, 0xffff, v5
	v_and_b32_e32 v7, 3, v5
	v_ffbh_u32_e32 v9, v7
	v_min_u32_e32 v9, 32, v9
	v_subrev_u32_e32 v10, 29, v9
	v_bfe_u32 v8, v5, 2, 5
	v_lshlrev_b32_e32 v5, v10, v5
	v_sub_u32_e32 v9, 30, v9
	v_and_b32_e32 v5, 3, v5
	v_cmp_eq_u32_e32 vcc, 0, v8
	v_cndmask_b32_e32 v8, v8, v9, vcc
	v_cndmask_b32_e32 v5, v7, v5, vcc
	v_mov_b32_e32 v7, 0x37800000
	v_lshlrev_b32_e32 v5, 21, v5
	v_and_b32_e32 v6, 0x80000000, v6
	v_lshl_add_u32 v7, v8, 23, v7
	v_or3_b32 v5, v6, v7, v5
	v_cvt_f64_f32_e32 v[40:41], v5
.LBB8_1454:
	s_or_b64 exec, exec, s[8:9]
	s_mov_b64 s[6:7], 0
	s_branch .LBB8_1458
.LBB8_1455:
	s_mov_b64 s[6:7], -1
                                        ; implicit-def: $vgpr40_vgpr41
	s_branch .LBB8_1464
.LBB8_1456:
	s_mov_b64 s[6:7], -1
                                        ; implicit-def: $vgpr40_vgpr41
	s_branch .LBB8_1461
.LBB8_1457:
	s_mov_b64 s[6:7], -1
                                        ; implicit-def: $vgpr40_vgpr41
.LBB8_1458:
	s_and_b64 vcc, exec, s[6:7]
	s_cbranch_vccz .LBB8_1460
; %bb.1459:
	global_load_ubyte v5, v[3:4], off
	s_mov_b32 s6, 0x7f800000
	s_waitcnt vmcnt(0)
	v_lshlrev_b32_e32 v5, 24, v5
	v_and_b32_e32 v6, 0x7f000000, v5
	v_ffbh_u32_e32 v7, v6
	v_min_u32_e32 v7, 32, v7
	v_sub_u32_e64 v7, v7, 4 clamp
	v_lshlrev_b32_e32 v9, v7, v6
	v_lshlrev_b32_e32 v7, 23, v7
	v_lshrrev_b32_e32 v9, 4, v9
	v_add_u32_e32 v8, 0x1000000, v6
	v_sub_u32_e32 v7, v9, v7
	v_ashrrev_i32_e32 v8, 8, v8
	v_add_u32_e32 v7, 0x3c000000, v7
	v_and_or_b32 v7, v8, s6, v7
	v_cmp_ne_u32_e32 vcc, 0, v6
	v_cndmask_b32_e32 v6, 0, v7, vcc
	s_brev_b32 s6, 1
	v_and_or_b32 v5, v5, s6, v6
	v_cvt_f64_f32_e32 v[40:41], v5
.LBB8_1460:
	s_mov_b64 s[6:7], 0
.LBB8_1461:
	s_andn2_b64 vcc, exec, s[6:7]
	s_cbranch_vccnz .LBB8_1463
; %bb.1462:
	global_load_ubyte v5, v[3:4], off
	s_movk_i32 s6, 0x7f00
	s_brev_b32 s7, 16
	s_waitcnt vmcnt(0)
	v_lshlrev_b16_e32 v6, 8, v5
	v_lshlrev_b32_e32 v5, 25, v5
	v_lshrrev_b32_e32 v7, 4, v5
	v_and_or_b32 v8, v6, s6, 0.5
	v_or_b32_e32 v7, 0x70000000, v7
	v_add_f32_e32 v8, -0.5, v8
	v_mul_f32_e32 v7, 0x7800000, v7
	v_cmp_gt_u32_e32 vcc, s7, v5
	v_bfe_i32 v6, v6, 0, 16
	v_cndmask_b32_e32 v5, v7, v8, vcc
	s_brev_b32 s6, 1
	v_and_or_b32 v5, v6, s6, v5
	v_cvt_f64_f32_e32 v[40:41], v5
.LBB8_1463:
	s_mov_b64 s[6:7], 0
	s_mov_b64 s[8:9], -1
.LBB8_1464:
	s_andn2_b64 vcc, exec, s[6:7]
	s_mov_b64 s[6:7], 0
	s_cbranch_vccnz .LBB8_1473
; %bb.1465:
	s_cmp_gt_i32 s15, 14
	s_cbranch_scc0 .LBB8_1468
; %bb.1466:
	s_cmp_eq_u32 s15, 15
	s_cbranch_scc0 .LBB8_1469
; %bb.1467:
	global_load_ushort v5, v[3:4], off
	s_mov_b64 s[4:5], 0
	s_mov_b64 s[8:9], -1
	s_waitcnt vmcnt(0)
	v_lshlrev_b32_e32 v5, 16, v5
	v_cvt_f64_f32_e32 v[40:41], v5
	s_branch .LBB8_1470
.LBB8_1468:
	s_mov_b64 s[10:11], -1
                                        ; implicit-def: $vgpr40_vgpr41
	s_branch .LBB8_1471
.LBB8_1469:
	s_mov_b64 s[4:5], -1
                                        ; implicit-def: $vgpr40_vgpr41
.LBB8_1470:
	s_mov_b64 s[10:11], 0
.LBB8_1471:
	s_and_b64 vcc, exec, s[10:11]
	s_cbranch_vccz .LBB8_1473
; %bb.1472:
	s_cmp_lg_u32 s15, 11
	s_mov_b64 s[6:7], -1
	s_cselect_b64 s[4:5], -1, 0
.LBB8_1473:
	s_and_b64 vcc, exec, s[4:5]
	s_cbranch_vccnz .LBB8_1536
; %bb.1474:
	s_andn2_b64 vcc, exec, s[6:7]
	s_cbranch_vccnz .LBB8_1476
.LBB8_1475:
	global_load_ubyte v5, v[3:4], off
	v_mov_b32_e32 v6, 0x3ff00000
	v_mov_b32_e32 v40, 0
	s_mov_b64 s[8:9], -1
	s_waitcnt vmcnt(0)
	v_cmp_ne_u16_e32 vcc, 0, v5
	v_cndmask_b32_e32 v41, 0, v6, vcc
.LBB8_1476:
	s_branch .LBB8_1404
.LBB8_1477:
	s_and_b32 s6, 0xffff, s14
	s_cmp_lt_i32 s6, 5
	s_cbranch_scc1 .LBB8_1482
; %bb.1478:
	s_cmp_lt_i32 s6, 8
	s_cbranch_scc1 .LBB8_1483
; %bb.1479:
	;; [unrolled: 3-line block ×3, first 2 shown]
	s_cmp_gt_i32 s6, 9
	s_cbranch_scc0 .LBB8_1485
; %bb.1481:
	global_load_dwordx2 v[40:41], v[3:4], off
	s_mov_b64 s[4:5], 0
	s_branch .LBB8_1486
.LBB8_1482:
	s_mov_b64 s[4:5], -1
                                        ; implicit-def: $vgpr40_vgpr41
	s_branch .LBB8_1504
.LBB8_1483:
	s_mov_b64 s[4:5], -1
                                        ; implicit-def: $vgpr40_vgpr41
	s_branch .LBB8_1492
.LBB8_1484:
	s_mov_b64 s[4:5], -1
                                        ; implicit-def: $vgpr40_vgpr41
	s_branch .LBB8_1489
.LBB8_1485:
	s_mov_b64 s[4:5], -1
                                        ; implicit-def: $vgpr40_vgpr41
.LBB8_1486:
	s_andn2_b64 vcc, exec, s[4:5]
	s_cbranch_vccnz .LBB8_1488
; %bb.1487:
	global_load_dword v5, v[3:4], off
	s_waitcnt vmcnt(0)
	v_cvt_f64_f32_e32 v[40:41], v5
.LBB8_1488:
	s_mov_b64 s[4:5], 0
.LBB8_1489:
	s_andn2_b64 vcc, exec, s[4:5]
	s_cbranch_vccnz .LBB8_1491
; %bb.1490:
	global_load_dword v5, v[3:4], off
	s_waitcnt vmcnt(0)
	v_cvt_f32_f16_e32 v5, v5
	v_cvt_f64_f32_e32 v[40:41], v5
.LBB8_1491:
	s_mov_b64 s[4:5], 0
.LBB8_1492:
	s_andn2_b64 vcc, exec, s[4:5]
	s_cbranch_vccnz .LBB8_1503
; %bb.1493:
	s_cmp_lt_i32 s6, 6
	s_cbranch_scc1 .LBB8_1496
; %bb.1494:
	s_cmp_gt_i32 s6, 6
	s_cbranch_scc0 .LBB8_1497
; %bb.1495:
	global_load_dwordx2 v[40:41], v[3:4], off
	s_mov_b64 s[4:5], 0
	s_branch .LBB8_1498
.LBB8_1496:
	s_mov_b64 s[4:5], -1
                                        ; implicit-def: $vgpr40_vgpr41
	s_branch .LBB8_1501
.LBB8_1497:
	s_mov_b64 s[4:5], -1
                                        ; implicit-def: $vgpr40_vgpr41
.LBB8_1498:
	s_andn2_b64 vcc, exec, s[4:5]
	s_cbranch_vccnz .LBB8_1500
; %bb.1499:
	global_load_dword v5, v[3:4], off
	s_waitcnt vmcnt(0)
	v_cvt_f64_f32_e32 v[40:41], v5
.LBB8_1500:
	s_mov_b64 s[4:5], 0
.LBB8_1501:
	s_andn2_b64 vcc, exec, s[4:5]
	s_cbranch_vccnz .LBB8_1503
; %bb.1502:
	global_load_ushort v5, v[3:4], off
	s_waitcnt vmcnt(0)
	v_cvt_f32_f16_e32 v5, v5
	v_cvt_f64_f32_e32 v[40:41], v5
.LBB8_1503:
	s_mov_b64 s[4:5], 0
.LBB8_1504:
	s_andn2_b64 vcc, exec, s[4:5]
	s_cbranch_vccnz .LBB8_1524
; %bb.1505:
	s_cmp_lt_i32 s6, 2
	s_cbranch_scc1 .LBB8_1509
; %bb.1506:
	s_cmp_lt_i32 s6, 3
	s_cbranch_scc1 .LBB8_1510
; %bb.1507:
	s_cmp_gt_i32 s6, 3
	s_cbranch_scc0 .LBB8_1511
; %bb.1508:
	global_load_dwordx2 v[5:6], v[3:4], off
	s_mov_b64 s[4:5], 0
	s_waitcnt vmcnt(0)
	v_cvt_f64_i32_e32 v[6:7], v6
	v_cvt_f64_u32_e32 v[8:9], v5
	v_ldexp_f64 v[6:7], v[6:7], 32
	v_add_f64 v[40:41], v[6:7], v[8:9]
	s_branch .LBB8_1512
.LBB8_1509:
	s_mov_b64 s[4:5], -1
                                        ; implicit-def: $vgpr40_vgpr41
	s_branch .LBB8_1518
.LBB8_1510:
	s_mov_b64 s[4:5], -1
                                        ; implicit-def: $vgpr40_vgpr41
	s_branch .LBB8_1515
.LBB8_1511:
	s_mov_b64 s[4:5], -1
                                        ; implicit-def: $vgpr40_vgpr41
.LBB8_1512:
	s_andn2_b64 vcc, exec, s[4:5]
	s_cbranch_vccnz .LBB8_1514
; %bb.1513:
	global_load_dword v5, v[3:4], off
	s_waitcnt vmcnt(0)
	v_cvt_f64_i32_e32 v[40:41], v5
.LBB8_1514:
	s_mov_b64 s[4:5], 0
.LBB8_1515:
	s_andn2_b64 vcc, exec, s[4:5]
	s_cbranch_vccnz .LBB8_1517
; %bb.1516:
	global_load_sshort v5, v[3:4], off
	s_waitcnt vmcnt(0)
	v_cvt_f64_i32_e32 v[40:41], v5
.LBB8_1517:
	s_mov_b64 s[4:5], 0
.LBB8_1518:
	s_andn2_b64 vcc, exec, s[4:5]
	s_cbranch_vccnz .LBB8_1524
; %bb.1519:
	s_cmp_gt_i32 s6, 0
	s_cbranch_scc0 .LBB8_1521
; %bb.1520:
	global_load_sbyte v5, v[3:4], off
	s_mov_b64 s[4:5], 0
	s_waitcnt vmcnt(0)
	v_cvt_f64_i32_e32 v[40:41], v5
	s_branch .LBB8_1522
.LBB8_1521:
	s_mov_b64 s[4:5], -1
                                        ; implicit-def: $vgpr40_vgpr41
.LBB8_1522:
	s_andn2_b64 vcc, exec, s[4:5]
	s_cbranch_vccnz .LBB8_1524
; %bb.1523:
	global_load_ubyte v3, v[3:4], off
	s_waitcnt vmcnt(0)
	v_cvt_f64_u32_e32 v[40:41], v3
.LBB8_1524:
.LBB8_1525:
	v_mov_b32_e32 v3, s39
	v_add_co_u32_e32 v2, vcc, s38, v2
	s_cmp_lt_i32 s14, 11
	v_addc_co_u32_e32 v3, vcc, 0, v3, vcc
	s_cbranch_scc1 .LBB8_1532
; %bb.1526:
	s_and_b32 s15, 0xffff, s14
	s_cmp_gt_i32 s15, 25
	s_mov_b64 s[6:7], 0
	s_cbranch_scc0 .LBB8_1533
; %bb.1527:
	s_cmp_gt_i32 s15, 28
	s_cbranch_scc0 .LBB8_1534
; %bb.1528:
	s_cmp_gt_i32 s15, 43
	;; [unrolled: 3-line block ×3, first 2 shown]
	s_cbranch_scc0 .LBB8_1537
; %bb.1530:
	s_cmp_eq_u32 s15, 46
	s_mov_b64 s[10:11], 0
	s_cbranch_scc0 .LBB8_1538
; %bb.1531:
	global_load_dword v4, v[2:3], off
	s_mov_b64 s[4:5], 0
	s_mov_b64 s[8:9], -1
	s_waitcnt vmcnt(0)
	v_lshlrev_b32_e32 v4, 16, v4
	v_cvt_f64_f32_e32 v[38:39], v4
	s_branch .LBB8_1539
.LBB8_1532:
	s_mov_b64 s[4:5], -1
	s_mov_b64 s[8:9], 0
                                        ; implicit-def: $vgpr38_vgpr39
	s_branch .LBB8_1605
.LBB8_1533:
	s_mov_b64 s[10:11], -1
	s_mov_b64 s[8:9], 0
	s_mov_b64 s[4:5], 0
                                        ; implicit-def: $vgpr38_vgpr39
	s_branch .LBB8_1570
.LBB8_1534:
	s_mov_b64 s[10:11], -1
	s_mov_b64 s[8:9], 0
	s_mov_b64 s[4:5], 0
                                        ; implicit-def: $vgpr38_vgpr39
	s_branch .LBB8_1549
.LBB8_1535:
	s_mov_b64 s[10:11], -1
	s_mov_b64 s[8:9], 0
	s_mov_b64 s[4:5], 0
                                        ; implicit-def: $vgpr38_vgpr39
	s_branch .LBB8_1544
.LBB8_1536:
	s_trap 2
	s_or_b64 s[34:35], s[34:35], exec
	s_cbranch_execz .LBB8_1475
	s_branch .LBB8_1476
.LBB8_1537:
	s_mov_b64 s[10:11], -1
	s_mov_b64 s[8:9], 0
	s_mov_b64 s[4:5], 0
                                        ; implicit-def: $vgpr38_vgpr39
	s_branch .LBB8_1539
.LBB8_1538:
	s_mov_b64 s[4:5], -1
                                        ; implicit-def: $vgpr38_vgpr39
	s_mov_b64 s[8:9], 0
.LBB8_1539:
	s_and_b64 vcc, exec, s[10:11]
	s_cbranch_vccz .LBB8_1543
; %bb.1540:
	s_cmp_eq_u32 s15, 44
	s_cbranch_scc0 .LBB8_1542
; %bb.1541:
	global_load_ubyte v6, v[2:3], off
	s_movk_i32 s8, 0xff
	v_bfrev_b32_e32 v7, 4
	v_mov_b32_e32 v8, 0x7ff80000
	v_bfrev_b32_e32 v9, 28
	s_mov_b64 s[4:5], 0
	s_waitcnt vmcnt(0)
	v_lshlrev_b32_e32 v4, 23, v6
	v_cvt_f64_f32_e32 v[4:5], v4
	v_cmp_ne_u32_e32 vcc, s8, v6
	s_mov_b64 s[8:9], -1
	v_cndmask_b32_e32 v4, v7, v4, vcc
	v_cndmask_b32_e32 v5, v8, v5, vcc
	v_cmp_ne_u32_e32 vcc, 0, v6
	v_cndmask_b32_e32 v39, v9, v5, vcc
	v_cndmask_b32_e32 v38, 0, v4, vcc
	s_branch .LBB8_1543
.LBB8_1542:
	s_mov_b64 s[4:5], -1
                                        ; implicit-def: $vgpr38_vgpr39
.LBB8_1543:
	s_mov_b64 s[10:11], 0
.LBB8_1544:
	s_and_b64 vcc, exec, s[10:11]
	s_cbranch_vccz .LBB8_1548
; %bb.1545:
	s_cmp_eq_u32 s15, 29
	s_cbranch_scc0 .LBB8_1547
; %bb.1546:
	global_load_dwordx2 v[4:5], v[2:3], off
	s_mov_b64 s[4:5], 0
	s_mov_b64 s[8:9], -1
	s_mov_b64 s[10:11], 0
	s_waitcnt vmcnt(0)
	v_cvt_f64_u32_e32 v[5:6], v5
	v_cvt_f64_u32_e32 v[7:8], v4
	v_ldexp_f64 v[5:6], v[5:6], 32
	v_add_f64 v[38:39], v[5:6], v[7:8]
	s_branch .LBB8_1549
.LBB8_1547:
	s_mov_b64 s[4:5], -1
                                        ; implicit-def: $vgpr38_vgpr39
.LBB8_1548:
	s_mov_b64 s[10:11], 0
.LBB8_1549:
	s_and_b64 vcc, exec, s[10:11]
	s_cbranch_vccz .LBB8_1569
; %bb.1550:
	s_cmp_lt_i32 s15, 27
	s_cbranch_scc1 .LBB8_1553
; %bb.1551:
	s_cmp_gt_i32 s15, 27
	s_cbranch_scc0 .LBB8_1554
; %bb.1552:
	global_load_dword v4, v[2:3], off
	s_mov_b64 s[8:9], 0
	s_waitcnt vmcnt(0)
	v_cvt_f64_u32_e32 v[38:39], v4
	s_branch .LBB8_1555
.LBB8_1553:
	s_mov_b64 s[8:9], -1
                                        ; implicit-def: $vgpr38_vgpr39
	s_branch .LBB8_1558
.LBB8_1554:
	s_mov_b64 s[8:9], -1
                                        ; implicit-def: $vgpr38_vgpr39
.LBB8_1555:
	s_andn2_b64 vcc, exec, s[8:9]
	s_cbranch_vccnz .LBB8_1557
; %bb.1556:
	global_load_ushort v4, v[2:3], off
	s_waitcnt vmcnt(0)
	v_cvt_f64_u32_e32 v[38:39], v4
.LBB8_1557:
	s_mov_b64 s[8:9], 0
.LBB8_1558:
	s_andn2_b64 vcc, exec, s[8:9]
	s_cbranch_vccnz .LBB8_1568
; %bb.1559:
	global_load_ubyte v4, v[2:3], off
	s_movk_i32 s8, 0x7f
	s_waitcnt vmcnt(0)
	v_cmp_lt_i16_e32 vcc, s8, v4
	s_mov_b64 s[8:9], 0
	s_and_saveexec_b64 s[10:11], vcc
	s_xor_b64 s[10:11], exec, s[10:11]
	s_cbranch_execz .LBB8_1563
; %bb.1560:
	s_movk_i32 s8, 0x80
	v_cmp_eq_u16_e32 vcc, s8, v4
	s_mov_b64 s[8:9], -1
	s_and_saveexec_b64 s[12:13], vcc
; %bb.1561:
	s_xor_b64 s[8:9], exec, -1
; %bb.1562:
	s_or_b64 exec, exec, s[12:13]
	s_and_b64 s[8:9], s[8:9], exec
.LBB8_1563:
	s_or_saveexec_b64 s[10:11], s[10:11]
	v_bfrev_b32_e32 v38, 4
	v_mov_b32_e32 v39, 0x7ff80000
	s_xor_b64 exec, exec, s[10:11]
; %bb.1564:
	v_cmp_ne_u16_e32 vcc, 0, v4
	v_mov_b32_e32 v38, 0
	s_andn2_b64 s[8:9], s[8:9], exec
	s_and_b64 s[12:13], vcc, exec
	v_mov_b32_e32 v39, 0
	s_or_b64 s[8:9], s[8:9], s[12:13]
; %bb.1565:
	s_or_b64 exec, exec, s[10:11]
	s_and_saveexec_b64 s[10:11], s[8:9]
	s_cbranch_execz .LBB8_1567
; %bb.1566:
	v_lshlrev_b32_e32 v5, 24, v4
	v_and_b32_e32 v4, 0xffff, v4
	v_and_b32_e32 v6, 7, v4
	v_ffbh_u32_e32 v8, v6
	v_min_u32_e32 v8, 32, v8
	v_subrev_u32_e32 v9, 28, v8
	v_bfe_u32 v7, v4, 3, 4
	v_lshlrev_b32_e32 v4, v9, v4
	v_sub_u32_e32 v8, 29, v8
	v_and_b32_e32 v4, 7, v4
	v_cmp_eq_u32_e32 vcc, 0, v7
	v_cndmask_b32_e32 v7, v7, v8, vcc
	v_cndmask_b32_e32 v4, v6, v4, vcc
	v_mov_b32_e32 v6, 0x3b800000
	v_lshlrev_b32_e32 v4, 20, v4
	v_and_b32_e32 v5, 0x80000000, v5
	v_lshl_add_u32 v6, v7, 23, v6
	v_or3_b32 v4, v5, v6, v4
	v_cvt_f64_f32_e32 v[38:39], v4
.LBB8_1567:
	s_or_b64 exec, exec, s[10:11]
.LBB8_1568:
	s_mov_b64 s[8:9], -1
.LBB8_1569:
	s_mov_b64 s[10:11], 0
.LBB8_1570:
	s_and_b64 vcc, exec, s[10:11]
	s_cbranch_vccz .LBB8_1601
; %bb.1571:
	s_cmp_gt_i32 s15, 22
	s_cbranch_scc0 .LBB8_1583
; %bb.1572:
	s_cmp_lt_i32 s15, 24
	s_cbranch_scc1 .LBB8_1584
; %bb.1573:
	s_cmp_gt_i32 s15, 24
	s_cbranch_scc0 .LBB8_1585
; %bb.1574:
	global_load_ubyte v4, v[2:3], off
	s_movk_i32 s6, 0x7f
	s_waitcnt vmcnt(0)
	v_cmp_lt_i16_e32 vcc, s6, v4
	s_mov_b64 s[6:7], 0
	s_and_saveexec_b64 s[8:9], vcc
	s_xor_b64 s[8:9], exec, s[8:9]
	s_cbranch_execz .LBB8_1578
; %bb.1575:
	s_movk_i32 s6, 0x80
	v_cmp_eq_u16_e32 vcc, s6, v4
	s_mov_b64 s[6:7], -1
	s_and_saveexec_b64 s[10:11], vcc
; %bb.1576:
	s_xor_b64 s[6:7], exec, -1
; %bb.1577:
	s_or_b64 exec, exec, s[10:11]
	s_and_b64 s[6:7], s[6:7], exec
.LBB8_1578:
	s_or_saveexec_b64 s[8:9], s[8:9]
	v_bfrev_b32_e32 v38, 4
	v_mov_b32_e32 v39, 0x7ff80000
	s_xor_b64 exec, exec, s[8:9]
; %bb.1579:
	v_cmp_ne_u16_e32 vcc, 0, v4
	v_mov_b32_e32 v38, 0
	s_andn2_b64 s[6:7], s[6:7], exec
	s_and_b64 s[10:11], vcc, exec
	v_mov_b32_e32 v39, 0
	s_or_b64 s[6:7], s[6:7], s[10:11]
; %bb.1580:
	s_or_b64 exec, exec, s[8:9]
	s_and_saveexec_b64 s[8:9], s[6:7]
	s_cbranch_execz .LBB8_1582
; %bb.1581:
	v_lshlrev_b32_e32 v5, 24, v4
	v_and_b32_e32 v4, 0xffff, v4
	v_and_b32_e32 v6, 3, v4
	v_ffbh_u32_e32 v8, v6
	v_min_u32_e32 v8, 32, v8
	v_subrev_u32_e32 v9, 29, v8
	v_bfe_u32 v7, v4, 2, 5
	v_lshlrev_b32_e32 v4, v9, v4
	v_sub_u32_e32 v8, 30, v8
	v_and_b32_e32 v4, 3, v4
	v_cmp_eq_u32_e32 vcc, 0, v7
	v_cndmask_b32_e32 v7, v7, v8, vcc
	v_cndmask_b32_e32 v4, v6, v4, vcc
	v_mov_b32_e32 v6, 0x37800000
	v_lshlrev_b32_e32 v4, 21, v4
	v_and_b32_e32 v5, 0x80000000, v5
	v_lshl_add_u32 v6, v7, 23, v6
	v_or3_b32 v4, v5, v6, v4
	v_cvt_f64_f32_e32 v[38:39], v4
.LBB8_1582:
	s_or_b64 exec, exec, s[8:9]
	s_mov_b64 s[6:7], 0
	s_branch .LBB8_1586
.LBB8_1583:
	s_mov_b64 s[6:7], -1
                                        ; implicit-def: $vgpr38_vgpr39
	s_branch .LBB8_1592
.LBB8_1584:
	s_mov_b64 s[6:7], -1
                                        ; implicit-def: $vgpr38_vgpr39
	s_branch .LBB8_1589
.LBB8_1585:
	s_mov_b64 s[6:7], -1
                                        ; implicit-def: $vgpr38_vgpr39
.LBB8_1586:
	s_and_b64 vcc, exec, s[6:7]
	s_cbranch_vccz .LBB8_1588
; %bb.1587:
	global_load_ubyte v4, v[2:3], off
	s_mov_b32 s6, 0x7f800000
	s_waitcnt vmcnt(0)
	v_lshlrev_b32_e32 v4, 24, v4
	v_and_b32_e32 v5, 0x7f000000, v4
	v_ffbh_u32_e32 v6, v5
	v_min_u32_e32 v6, 32, v6
	v_sub_u32_e64 v6, v6, 4 clamp
	v_lshlrev_b32_e32 v8, v6, v5
	v_lshlrev_b32_e32 v6, 23, v6
	v_lshrrev_b32_e32 v8, 4, v8
	v_add_u32_e32 v7, 0x1000000, v5
	v_sub_u32_e32 v6, v8, v6
	v_ashrrev_i32_e32 v7, 8, v7
	v_add_u32_e32 v6, 0x3c000000, v6
	v_and_or_b32 v6, v7, s6, v6
	v_cmp_ne_u32_e32 vcc, 0, v5
	v_cndmask_b32_e32 v5, 0, v6, vcc
	s_brev_b32 s6, 1
	v_and_or_b32 v4, v4, s6, v5
	v_cvt_f64_f32_e32 v[38:39], v4
.LBB8_1588:
	s_mov_b64 s[6:7], 0
.LBB8_1589:
	s_andn2_b64 vcc, exec, s[6:7]
	s_cbranch_vccnz .LBB8_1591
; %bb.1590:
	global_load_ubyte v4, v[2:3], off
	s_movk_i32 s6, 0x7f00
	s_brev_b32 s7, 16
	s_waitcnt vmcnt(0)
	v_lshlrev_b16_e32 v5, 8, v4
	v_lshlrev_b32_e32 v4, 25, v4
	v_lshrrev_b32_e32 v6, 4, v4
	v_and_or_b32 v7, v5, s6, 0.5
	v_or_b32_e32 v6, 0x70000000, v6
	v_add_f32_e32 v7, -0.5, v7
	v_mul_f32_e32 v6, 0x7800000, v6
	v_cmp_gt_u32_e32 vcc, s7, v4
	v_bfe_i32 v5, v5, 0, 16
	v_cndmask_b32_e32 v4, v6, v7, vcc
	s_brev_b32 s6, 1
	v_and_or_b32 v4, v5, s6, v4
	v_cvt_f64_f32_e32 v[38:39], v4
.LBB8_1591:
	s_mov_b64 s[6:7], 0
	s_mov_b64 s[8:9], -1
.LBB8_1592:
	s_andn2_b64 vcc, exec, s[6:7]
	s_mov_b64 s[6:7], 0
	s_cbranch_vccnz .LBB8_1601
; %bb.1593:
	s_cmp_gt_i32 s15, 14
	s_cbranch_scc0 .LBB8_1596
; %bb.1594:
	s_cmp_eq_u32 s15, 15
	s_cbranch_scc0 .LBB8_1597
; %bb.1595:
	global_load_ushort v4, v[2:3], off
	s_mov_b64 s[4:5], 0
	s_mov_b64 s[8:9], -1
	s_waitcnt vmcnt(0)
	v_lshlrev_b32_e32 v4, 16, v4
	v_cvt_f64_f32_e32 v[38:39], v4
	s_branch .LBB8_1598
.LBB8_1596:
	s_mov_b64 s[10:11], -1
                                        ; implicit-def: $vgpr38_vgpr39
	s_branch .LBB8_1599
.LBB8_1597:
	s_mov_b64 s[4:5], -1
                                        ; implicit-def: $vgpr38_vgpr39
.LBB8_1598:
	s_mov_b64 s[10:11], 0
.LBB8_1599:
	s_and_b64 vcc, exec, s[10:11]
	s_cbranch_vccz .LBB8_1601
; %bb.1600:
	s_cmp_lg_u32 s15, 11
	s_mov_b64 s[6:7], -1
	s_cselect_b64 s[4:5], -1, 0
.LBB8_1601:
	s_and_b64 vcc, exec, s[4:5]
	s_cbranch_vccnz .LBB8_2134
; %bb.1602:
	s_andn2_b64 vcc, exec, s[6:7]
	s_cbranch_vccnz .LBB8_1604
.LBB8_1603:
	global_load_ubyte v4, v[2:3], off
	v_mov_b32_e32 v5, 0x3ff00000
	v_mov_b32_e32 v38, 0
	s_mov_b64 s[8:9], -1
	s_waitcnt vmcnt(0)
	v_cmp_ne_u16_e32 vcc, 0, v4
	v_cndmask_b32_e32 v39, 0, v5, vcc
.LBB8_1604:
	s_mov_b64 s[4:5], 0
.LBB8_1605:
	s_and_b64 vcc, exec, s[4:5]
	s_cbranch_vccz .LBB8_1654
; %bb.1606:
	s_and_b32 s6, 0xffff, s14
	s_cmp_lt_i32 s6, 5
	s_cbranch_scc1 .LBB8_1611
; %bb.1607:
	s_cmp_lt_i32 s6, 8
	s_cbranch_scc1 .LBB8_1612
; %bb.1608:
	s_cmp_lt_i32 s6, 9
	s_cbranch_scc1 .LBB8_1613
; %bb.1609:
	s_cmp_gt_i32 s6, 9
	s_cbranch_scc0 .LBB8_1614
; %bb.1610:
	global_load_dwordx2 v[38:39], v[2:3], off
	s_mov_b64 s[4:5], 0
	s_branch .LBB8_1615
.LBB8_1611:
	s_mov_b64 s[4:5], -1
                                        ; implicit-def: $vgpr38_vgpr39
	s_branch .LBB8_1633
.LBB8_1612:
	s_mov_b64 s[4:5], -1
                                        ; implicit-def: $vgpr38_vgpr39
	s_branch .LBB8_1621
.LBB8_1613:
	s_mov_b64 s[4:5], -1
                                        ; implicit-def: $vgpr38_vgpr39
	s_branch .LBB8_1618
.LBB8_1614:
	s_mov_b64 s[4:5], -1
                                        ; implicit-def: $vgpr38_vgpr39
.LBB8_1615:
	s_andn2_b64 vcc, exec, s[4:5]
	s_cbranch_vccnz .LBB8_1617
; %bb.1616:
	global_load_dword v4, v[2:3], off
	s_waitcnt vmcnt(0)
	v_cvt_f64_f32_e32 v[38:39], v4
.LBB8_1617:
	s_mov_b64 s[4:5], 0
.LBB8_1618:
	s_andn2_b64 vcc, exec, s[4:5]
	s_cbranch_vccnz .LBB8_1620
; %bb.1619:
	global_load_dword v4, v[2:3], off
	s_waitcnt vmcnt(0)
	v_cvt_f32_f16_e32 v4, v4
	v_cvt_f64_f32_e32 v[38:39], v4
.LBB8_1620:
	s_mov_b64 s[4:5], 0
.LBB8_1621:
	s_andn2_b64 vcc, exec, s[4:5]
	s_cbranch_vccnz .LBB8_1632
; %bb.1622:
	s_cmp_lt_i32 s6, 6
	s_cbranch_scc1 .LBB8_1625
; %bb.1623:
	s_cmp_gt_i32 s6, 6
	s_cbranch_scc0 .LBB8_1626
; %bb.1624:
	global_load_dwordx2 v[38:39], v[2:3], off
	s_mov_b64 s[4:5], 0
	s_branch .LBB8_1627
.LBB8_1625:
	s_mov_b64 s[4:5], -1
                                        ; implicit-def: $vgpr38_vgpr39
	s_branch .LBB8_1630
.LBB8_1626:
	s_mov_b64 s[4:5], -1
                                        ; implicit-def: $vgpr38_vgpr39
.LBB8_1627:
	s_andn2_b64 vcc, exec, s[4:5]
	s_cbranch_vccnz .LBB8_1629
; %bb.1628:
	global_load_dword v4, v[2:3], off
	s_waitcnt vmcnt(0)
	v_cvt_f64_f32_e32 v[38:39], v4
.LBB8_1629:
	s_mov_b64 s[4:5], 0
.LBB8_1630:
	s_andn2_b64 vcc, exec, s[4:5]
	s_cbranch_vccnz .LBB8_1632
; %bb.1631:
	global_load_ushort v4, v[2:3], off
	s_waitcnt vmcnt(0)
	v_cvt_f32_f16_e32 v4, v4
	v_cvt_f64_f32_e32 v[38:39], v4
.LBB8_1632:
	s_mov_b64 s[4:5], 0
.LBB8_1633:
	s_andn2_b64 vcc, exec, s[4:5]
	s_cbranch_vccnz .LBB8_1653
; %bb.1634:
	s_cmp_lt_i32 s6, 2
	s_cbranch_scc1 .LBB8_1638
; %bb.1635:
	s_cmp_lt_i32 s6, 3
	s_cbranch_scc1 .LBB8_1639
; %bb.1636:
	s_cmp_gt_i32 s6, 3
	s_cbranch_scc0 .LBB8_1640
; %bb.1637:
	global_load_dwordx2 v[4:5], v[2:3], off
	s_mov_b64 s[4:5], 0
	s_waitcnt vmcnt(0)
	v_cvt_f64_i32_e32 v[5:6], v5
	v_cvt_f64_u32_e32 v[7:8], v4
	v_ldexp_f64 v[5:6], v[5:6], 32
	v_add_f64 v[38:39], v[5:6], v[7:8]
	s_branch .LBB8_1641
.LBB8_1638:
	s_mov_b64 s[4:5], -1
                                        ; implicit-def: $vgpr38_vgpr39
	s_branch .LBB8_1647
.LBB8_1639:
	s_mov_b64 s[4:5], -1
                                        ; implicit-def: $vgpr38_vgpr39
	s_branch .LBB8_1644
.LBB8_1640:
	s_mov_b64 s[4:5], -1
                                        ; implicit-def: $vgpr38_vgpr39
.LBB8_1641:
	s_andn2_b64 vcc, exec, s[4:5]
	s_cbranch_vccnz .LBB8_1643
; %bb.1642:
	global_load_dword v4, v[2:3], off
	s_waitcnt vmcnt(0)
	v_cvt_f64_i32_e32 v[38:39], v4
.LBB8_1643:
	s_mov_b64 s[4:5], 0
.LBB8_1644:
	s_andn2_b64 vcc, exec, s[4:5]
	s_cbranch_vccnz .LBB8_1646
; %bb.1645:
	global_load_sshort v4, v[2:3], off
	s_waitcnt vmcnt(0)
	v_cvt_f64_i32_e32 v[38:39], v4
.LBB8_1646:
	s_mov_b64 s[4:5], 0
.LBB8_1647:
	s_andn2_b64 vcc, exec, s[4:5]
	s_cbranch_vccnz .LBB8_1653
; %bb.1648:
	s_cmp_gt_i32 s6, 0
	s_cbranch_scc0 .LBB8_1650
; %bb.1649:
	global_load_sbyte v4, v[2:3], off
	s_mov_b64 s[4:5], 0
	s_waitcnt vmcnt(0)
	v_cvt_f64_i32_e32 v[38:39], v4
	s_branch .LBB8_1651
.LBB8_1650:
	s_mov_b64 s[4:5], -1
                                        ; implicit-def: $vgpr38_vgpr39
.LBB8_1651:
	s_andn2_b64 vcc, exec, s[4:5]
	s_cbranch_vccnz .LBB8_1653
; %bb.1652:
	global_load_ubyte v2, v[2:3], off
	s_waitcnt vmcnt(0)
	v_cvt_f64_u32_e32 v[38:39], v2
.LBB8_1653:
	s_mov_b64 s[8:9], -1
.LBB8_1654:
	s_andn2_b64 vcc, exec, s[8:9]
	s_cbranch_vccnz .LBB8_2088
; %bb.1655:
	s_bfe_u32 s38, s33, 0x80008
	s_getpc_b64 s[4:5]
	s_add_u32 s4, s4, _ZZZZN2at6native12_GLOBAL__N_121bessel_j1_kernel_cudaERNS_18TensorIteratorBaseEENKUlvE_clEvENKUlvE_clEvENKUldE_clEd@rel32@lo+4
	s_addc_u32 s5, s5, _ZZZZN2at6native12_GLOBAL__N_121bessel_j1_kernel_cudaERNS_18TensorIteratorBaseEENKUlvE_clEvENKUlvE_clEvENKUldE_clEd@rel32@hi+12
	s_swappc_b64 s[30:31], s[4:5]
	v_mov_b32_e32 v2, s37
	v_add_co_u32_e32 v4, vcc, s36, v50
	s_cmp_lt_i32 s38, 11
	v_addc_co_u32_e32 v5, vcc, 0, v2, vcc
	s_cbranch_scc1 .LBB8_1733
; %bb.1656:
	s_and_b32 s14, 0xffff, s38
	s_mov_b64 s[10:11], -1
	s_mov_b64 s[6:7], 0
	s_cmp_gt_i32 s14, 25
	s_mov_b64 s[8:9], 0
	s_mov_b64 s[4:5], 0
	s_cbranch_scc0 .LBB8_1689
; %bb.1657:
	s_cmp_gt_i32 s14, 28
	s_cbranch_scc0 .LBB8_1672
; %bb.1658:
	s_cmp_gt_i32 s14, 43
	;; [unrolled: 3-line block ×3, first 2 shown]
	s_cbranch_scc0 .LBB8_1662
; %bb.1660:
	s_mov_b64 s[4:5], -1
	s_mov_b64 s[10:11], 0
	s_cmp_eq_u32 s14, 46
	s_cbranch_scc0 .LBB8_1662
; %bb.1661:
	v_cvt_f32_f64_e32 v2, v[0:1]
	s_movk_i32 s4, 0x7fff
	v_mov_b32_e32 v3, 0x7fc0
	s_mov_b64 s[8:9], -1
	v_bfe_u32 v6, v2, 16, 1
	v_cmp_o_f32_e32 vcc, v2, v2
	v_add3_u32 v2, v2, v6, s4
	v_cndmask_b32_sdwa v2, v3, v2, vcc dst_sel:DWORD dst_unused:UNUSED_PAD src0_sel:DWORD src1_sel:WORD_1
	global_store_dword v[4:5], v2, off
	s_mov_b64 s[4:5], 0
.LBB8_1662:
	s_and_b64 vcc, exec, s[10:11]
	s_cbranch_vccz .LBB8_1667
; %bb.1663:
	s_cmp_eq_u32 s14, 44
	s_mov_b64 s[4:5], -1
	s_cbranch_scc0 .LBB8_1667
; %bb.1664:
	v_cvt_f32_f64_e32 v2, v[0:1]
	s_movk_i32 s4, 0xff
	v_mov_b32_e32 v6, 0xff
	v_bfe_u32 v3, v2, 23, 8
	v_cmp_ne_u32_e32 vcc, s4, v3
	s_and_saveexec_b64 s[8:9], vcc
; %bb.1665:
	s_mov_b32 s4, 0x3fffff
	v_lshrrev_b32_e32 v6, 23, v2
	v_and_b32_e32 v7, 0x400000, v2
	v_and_or_b32 v2, v2, s4, v3
	v_cmp_ne_u32_e32 vcc, 0, v7
	v_cmp_ne_u32_e64 s[4:5], 0, v2
	s_and_b64 s[4:5], vcc, s[4:5]
	v_cndmask_b32_e64 v2, 0, 1, s[4:5]
	v_add_u32_e32 v6, v6, v2
; %bb.1666:
	s_or_b64 exec, exec, s[8:9]
	s_mov_b64 s[4:5], 0
	s_mov_b64 s[8:9], -1
	global_store_byte v[4:5], v6, off
.LBB8_1667:
	s_mov_b64 s[10:11], 0
.LBB8_1668:
	s_and_b64 vcc, exec, s[10:11]
	s_cbranch_vccz .LBB8_1671
; %bb.1669:
	s_cmp_eq_u32 s14, 29
	s_mov_b64 s[4:5], -1
	s_cbranch_scc0 .LBB8_1671
; %bb.1670:
	v_trunc_f64_e32 v[2:3], v[0:1]
	s_movk_i32 s4, 0xffe0
	s_mov_b64 s[8:9], -1
	v_ldexp_f64 v[6:7], v[2:3], s4
	s_mov_b32 s4, 0
	s_mov_b32 s5, 0xc1f00000
	v_floor_f64_e32 v[6:7], v[6:7]
	v_fma_f64 v[2:3], v[6:7], s[4:5], v[2:3]
	v_cvt_u32_f64_e32 v7, v[6:7]
	s_mov_b64 s[4:5], 0
	v_cvt_u32_f64_e32 v6, v[2:3]
	global_store_dwordx2 v[4:5], v[6:7], off
.LBB8_1671:
	s_mov_b64 s[10:11], 0
.LBB8_1672:
	s_and_b64 vcc, exec, s[10:11]
	s_cbranch_vccz .LBB8_1688
; %bb.1673:
	s_cmp_lt_i32 s14, 27
	s_mov_b64 s[8:9], -1
	s_cbranch_scc1 .LBB8_1679
; %bb.1674:
	v_cvt_u32_f64_e32 v2, v[0:1]
	s_cmp_gt_i32 s14, 27
	s_cbranch_scc0 .LBB8_1676
; %bb.1675:
	s_mov_b64 s[8:9], 0
	global_store_dword v[4:5], v2, off
.LBB8_1676:
	s_andn2_b64 vcc, exec, s[8:9]
	s_cbranch_vccnz .LBB8_1678
; %bb.1677:
	global_store_short v[4:5], v2, off
.LBB8_1678:
	s_mov_b64 s[8:9], 0
.LBB8_1679:
	s_andn2_b64 vcc, exec, s[8:9]
	s_cbranch_vccnz .LBB8_1687
; %bb.1680:
	v_cvt_f32_f64_e32 v2, v[0:1]
	s_mov_b32 s8, 0x43800000
	v_mov_b32_e32 v6, 0x80
	v_and_b32_e32 v3, 0x7fffffff, v2
	v_cmp_gt_u32_e32 vcc, s8, v3
	s_and_saveexec_b64 s[8:9], vcc
	s_cbranch_execz .LBB8_1686
; %bb.1681:
	s_mov_b32 s10, 0x3bffffff
	v_cmp_lt_u32_e32 vcc, s10, v3
	s_mov_b64 s[10:11], 0
                                        ; implicit-def: $vgpr3
	s_and_saveexec_b64 s[12:13], vcc
	s_xor_b64 s[12:13], exec, s[12:13]
	s_cbranch_execz .LBB8_2135
; %bb.1682:
	v_bfe_u32 v3, v2, 20, 1
	s_mov_b32 s15, 0x487ffff
	v_add3_u32 v3, v2, v3, s15
	s_mov_b64 s[10:11], exec
	v_lshrrev_b32_e32 v3, 20, v3
	s_andn2_saveexec_b64 s[12:13], s[12:13]
	s_cbranch_execnz .LBB8_2136
.LBB8_1683:
	s_or_b64 exec, exec, s[12:13]
	v_mov_b32_e32 v6, 0
	s_and_saveexec_b64 s[12:13], s[10:11]
.LBB8_1684:
	v_lshrrev_b32_e32 v2, 24, v2
	s_movk_i32 s10, 0x80
	v_and_or_b32 v6, v2, s10, v3
.LBB8_1685:
	s_or_b64 exec, exec, s[12:13]
.LBB8_1686:
	s_or_b64 exec, exec, s[8:9]
	global_store_byte v[4:5], v6, off
.LBB8_1687:
	s_mov_b64 s[8:9], -1
.LBB8_1688:
	s_mov_b64 s[10:11], 0
.LBB8_1689:
	s_and_b64 vcc, exec, s[10:11]
	s_cbranch_vccz .LBB8_1729
; %bb.1690:
	s_cmp_gt_i32 s14, 22
	s_mov_b64 s[6:7], -1
	s_cbranch_scc0 .LBB8_1722
; %bb.1691:
	s_cmp_lt_i32 s14, 24
	s_cbranch_scc1 .LBB8_1711
; %bb.1692:
	s_cmp_gt_i32 s14, 24
	s_cbranch_scc0 .LBB8_1700
; %bb.1693:
	v_cvt_f32_f64_e32 v2, v[0:1]
	s_mov_b32 s6, 0x47800000
	v_mov_b32_e32 v6, 0x80
	v_and_b32_e32 v3, 0x7fffffff, v2
	v_cmp_gt_u32_e32 vcc, s6, v3
	s_and_saveexec_b64 s[6:7], vcc
	s_cbranch_execz .LBB8_1699
; %bb.1694:
	s_mov_b32 s8, 0x37ffffff
	v_cmp_lt_u32_e32 vcc, s8, v3
	s_mov_b64 s[8:9], 0
                                        ; implicit-def: $vgpr3
	s_and_saveexec_b64 s[10:11], vcc
	s_xor_b64 s[10:11], exec, s[10:11]
	s_cbranch_execz .LBB8_2138
; %bb.1695:
	v_bfe_u32 v3, v2, 21, 1
	s_mov_b32 s12, 0x88fffff
	v_add3_u32 v3, v2, v3, s12
	s_mov_b64 s[8:9], exec
	v_lshrrev_b32_e32 v3, 21, v3
	s_andn2_saveexec_b64 s[10:11], s[10:11]
	s_cbranch_execnz .LBB8_2139
.LBB8_1696:
	s_or_b64 exec, exec, s[10:11]
	v_mov_b32_e32 v6, 0
	s_and_saveexec_b64 s[10:11], s[8:9]
.LBB8_1697:
	v_lshrrev_b32_e32 v2, 24, v2
	s_movk_i32 s8, 0x80
	v_and_or_b32 v6, v2, s8, v3
.LBB8_1698:
	s_or_b64 exec, exec, s[10:11]
.LBB8_1699:
	s_or_b64 exec, exec, s[6:7]
	s_mov_b64 s[6:7], 0
	global_store_byte v[4:5], v6, off
.LBB8_1700:
	s_and_b64 vcc, exec, s[6:7]
	s_cbranch_vccz .LBB8_1710
; %bb.1701:
	v_cvt_f32_f64_e32 v2, v[0:1]
	s_mov_b32 s6, 0x43f00000
                                        ; implicit-def: $vgpr3
	v_and_b32_e32 v6, 0x7fffffff, v2
	v_cmp_gt_u32_e32 vcc, s6, v6
	s_and_saveexec_b64 s[6:7], vcc
	s_xor_b64 s[6:7], exec, s[6:7]
	s_cbranch_execz .LBB8_1707
; %bb.1702:
	s_mov_b32 s8, 0x3c7fffff
	v_cmp_lt_u32_e32 vcc, s8, v6
                                        ; implicit-def: $vgpr3
	s_and_saveexec_b64 s[8:9], vcc
	s_xor_b64 s[8:9], exec, s[8:9]
; %bb.1703:
	v_bfe_u32 v3, v2, 20, 1
	s_mov_b32 s10, 0x407ffff
	v_add3_u32 v3, v2, v3, s10
	v_lshrrev_b32_e32 v6, 20, v3
	v_and_b32_e32 v3, 0xff00000, v3
	s_mov_b32 s10, 0x7f00000
	v_mov_b32_e32 v7, 0x7e
	v_cmp_ne_u32_e32 vcc, s10, v3
	v_cndmask_b32_e32 v3, v7, v6, vcc
; %bb.1704:
	s_andn2_saveexec_b64 s[8:9], s[8:9]
; %bb.1705:
	s_mov_b32 s10, 0x46800000
	v_add_f32_e64 v3, |v2|, s10
; %bb.1706:
	s_or_b64 exec, exec, s[8:9]
                                        ; implicit-def: $vgpr6
.LBB8_1707:
	s_andn2_saveexec_b64 s[6:7], s[6:7]
; %bb.1708:
	s_mov_b32 s8, 0x7f800000
	v_mov_b32_e32 v3, 0x7e
	v_mov_b32_e32 v7, 0x7f
	v_cmp_lt_u32_e32 vcc, s8, v6
	v_cndmask_b32_e32 v3, v3, v7, vcc
; %bb.1709:
	s_or_b64 exec, exec, s[6:7]
	v_lshrrev_b32_e32 v2, 24, v2
	s_movk_i32 s6, 0x80
	v_and_or_b32 v2, v2, s6, v3
	global_store_byte v[4:5], v2, off
.LBB8_1710:
	s_mov_b64 s[6:7], 0
.LBB8_1711:
	s_andn2_b64 vcc, exec, s[6:7]
	s_cbranch_vccnz .LBB8_1721
; %bb.1712:
	v_cvt_f32_f64_e32 v2, v[0:1]
	s_mov_b32 s6, 0x47800000
                                        ; implicit-def: $vgpr3
	v_and_b32_e32 v6, 0x7fffffff, v2
	v_cmp_gt_u32_e32 vcc, s6, v6
	s_and_saveexec_b64 s[6:7], vcc
	s_xor_b64 s[6:7], exec, s[6:7]
	s_cbranch_execz .LBB8_1718
; %bb.1713:
	s_mov_b32 s8, 0x387fffff
	v_cmp_lt_u32_e32 vcc, s8, v6
                                        ; implicit-def: $vgpr3
	s_and_saveexec_b64 s[8:9], vcc
	s_xor_b64 s[8:9], exec, s[8:9]
; %bb.1714:
	v_bfe_u32 v3, v2, 21, 1
	s_mov_b32 s10, 0x80fffff
	v_add3_u32 v3, v2, v3, s10
	v_lshrrev_b32_e32 v3, 21, v3
; %bb.1715:
	s_andn2_saveexec_b64 s[8:9], s[8:9]
; %bb.1716:
	s_mov_b32 s10, 0x43000000
	v_add_f32_e64 v3, |v2|, s10
; %bb.1717:
	s_or_b64 exec, exec, s[8:9]
                                        ; implicit-def: $vgpr6
.LBB8_1718:
	s_andn2_saveexec_b64 s[6:7], s[6:7]
; %bb.1719:
	s_mov_b32 s8, 0x7f800000
	v_mov_b32_e32 v3, 0x7c
	v_mov_b32_e32 v7, 0x7f
	v_cmp_lt_u32_e32 vcc, s8, v6
	v_cndmask_b32_e32 v3, v3, v7, vcc
; %bb.1720:
	s_or_b64 exec, exec, s[6:7]
	v_lshrrev_b32_e32 v2, 24, v2
	s_movk_i32 s6, 0x80
	v_and_or_b32 v2, v2, s6, v3
	global_store_byte v[4:5], v2, off
.LBB8_1721:
	s_mov_b64 s[6:7], 0
	s_mov_b64 s[8:9], -1
.LBB8_1722:
	s_andn2_b64 vcc, exec, s[6:7]
	s_mov_b64 s[6:7], 0
	s_cbranch_vccnz .LBB8_1729
; %bb.1723:
	s_cmp_gt_i32 s14, 14
	s_mov_b64 s[10:11], -1
	s_cbranch_scc0 .LBB8_1727
; %bb.1724:
	s_cmp_eq_u32 s14, 15
	s_mov_b64 s[4:5], -1
	s_cbranch_scc0 .LBB8_1726
; %bb.1725:
	v_cvt_f32_f64_e32 v2, v[0:1]
	s_movk_i32 s4, 0x7fff
	v_mov_b32_e32 v3, 0x7fc0
	s_mov_b64 s[8:9], -1
	v_bfe_u32 v6, v2, 16, 1
	v_cmp_o_f32_e32 vcc, v2, v2
	v_add3_u32 v2, v2, v6, s4
	v_cndmask_b32_sdwa v2, v3, v2, vcc dst_sel:DWORD dst_unused:UNUSED_PAD src0_sel:DWORD src1_sel:WORD_1
	global_store_short v[4:5], v2, off
	s_mov_b64 s[4:5], 0
.LBB8_1726:
	s_mov_b64 s[10:11], 0
.LBB8_1727:
	s_and_b64 vcc, exec, s[10:11]
	s_cbranch_vccz .LBB8_1729
; %bb.1728:
	s_cmp_lg_u32 s14, 11
	s_mov_b64 s[6:7], -1
	s_cselect_b64 s[4:5], -1, 0
.LBB8_1729:
	s_and_b64 vcc, exec, s[4:5]
	s_cbranch_vccnz .LBB8_2137
; %bb.1730:
	s_andn2_b64 vcc, exec, s[6:7]
	s_cbranch_vccnz .LBB8_1732
.LBB8_1731:
	v_cmp_neq_f64_e32 vcc, 0, v[0:1]
	s_mov_b64 s[8:9], -1
	v_cndmask_b32_e64 v2, 0, 1, vcc
	global_store_byte v[4:5], v2, off
.LBB8_1732:
	s_mov_b64 s[4:5], 0
	s_branch .LBB8_1734
.LBB8_1733:
	s_mov_b64 s[4:5], -1
	s_mov_b64 s[8:9], 0
.LBB8_1734:
	s_and_b64 vcc, exec, s[4:5]
	s_cbranch_vccz .LBB8_1773
; %bb.1735:
	s_and_b32 s6, 0xffff, s38
	s_cmp_lt_i32 s6, 5
	s_mov_b64 s[4:5], -1
	s_cbranch_scc1 .LBB8_1756
; %bb.1736:
	s_cmp_lt_i32 s6, 8
	s_cbranch_scc1 .LBB8_1746
; %bb.1737:
	s_cmp_lt_i32 s6, 9
	s_cbranch_scc1 .LBB8_1743
; %bb.1738:
	s_cmp_gt_i32 s6, 9
	s_cbranch_scc0 .LBB8_1740
; %bb.1739:
	v_mov_b32_e32 v2, 0
	v_mov_b32_e32 v3, v2
	global_store_dwordx4 v[4:5], v[0:3], off
	s_mov_b64 s[4:5], 0
.LBB8_1740:
	s_andn2_b64 vcc, exec, s[4:5]
	s_cbranch_vccnz .LBB8_1742
; %bb.1741:
	v_cvt_f32_f64_e32 v2, v[0:1]
	v_mov_b32_e32 v3, 0
	global_store_dwordx2 v[4:5], v[2:3], off
.LBB8_1742:
	s_mov_b64 s[4:5], 0
.LBB8_1743:
	s_andn2_b64 vcc, exec, s[4:5]
	s_cbranch_vccnz .LBB8_1745
; %bb.1744:
	s_movk_i32 s4, 0x1ff
	v_and_or_b32 v2, v1, s4, v0
	v_cmp_ne_u32_e32 vcc, 0, v2
	v_cndmask_b32_e64 v2, 0, 1, vcc
	v_lshrrev_b32_e32 v3, 8, v1
	s_movk_i32 s4, 0xffe
	v_bfe_u32 v6, v1, 20, 11
	v_and_or_b32 v2, v3, s4, v2
	v_sub_u32_e32 v7, 0x3f1, v6
	v_or_b32_e32 v3, 0x1000, v2
	v_med3_i32 v7, v7, 0, 13
	v_lshrrev_b32_e32 v8, v7, v3
	v_lshlrev_b32_e32 v7, v7, v8
	v_cmp_ne_u32_e32 vcc, v7, v3
	v_cndmask_b32_e64 v3, 0, 1, vcc
	v_add_u32_e32 v6, 0xfffffc10, v6
	v_or_b32_e32 v3, v8, v3
	v_lshl_or_b32 v7, v6, 12, v2
	v_cmp_gt_i32_e32 vcc, 1, v6
	v_cndmask_b32_e32 v3, v7, v3, vcc
	v_and_b32_e32 v7, 7, v3
	v_cmp_lt_i32_e32 vcc, 5, v7
	v_cndmask_b32_e64 v8, 0, 1, vcc
	v_cmp_eq_u32_e32 vcc, 3, v7
	v_cndmask_b32_e64 v7, 0, 1, vcc
	v_or_b32_e32 v7, v7, v8
	v_lshrrev_b32_e32 v3, 2, v3
	v_add_u32_e32 v3, v3, v7
	v_mov_b32_e32 v7, 0x7c00
	v_cmp_gt_i32_e32 vcc, 31, v6
	v_cndmask_b32_e32 v3, v7, v3, vcc
	v_mov_b32_e32 v8, 0x7e00
	v_cmp_ne_u32_e32 vcc, 0, v2
	s_movk_i32 s4, 0x40f
	v_cndmask_b32_e32 v2, v7, v8, vcc
	v_cmp_eq_u32_e32 vcc, s4, v6
	v_cndmask_b32_e32 v2, v3, v2, vcc
	v_lshrrev_b32_e32 v3, 16, v1
	s_mov_b32 s4, 0x8000
	v_and_or_b32 v2, v3, s4, v2
	v_and_b32_e32 v2, 0xffff, v2
	global_store_dword v[4:5], v2, off
.LBB8_1745:
	s_mov_b64 s[4:5], 0
.LBB8_1746:
	s_andn2_b64 vcc, exec, s[4:5]
	s_cbranch_vccnz .LBB8_1755
; %bb.1747:
	s_cmp_lt_i32 s6, 6
	s_mov_b64 s[4:5], -1
	s_cbranch_scc1 .LBB8_1753
; %bb.1748:
	s_cmp_gt_i32 s6, 6
	s_cbranch_scc0 .LBB8_1750
; %bb.1749:
	global_store_dwordx2 v[4:5], v[0:1], off
	s_mov_b64 s[4:5], 0
.LBB8_1750:
	s_andn2_b64 vcc, exec, s[4:5]
	s_cbranch_vccnz .LBB8_1752
; %bb.1751:
	v_cvt_f32_f64_e32 v2, v[0:1]
	global_store_dword v[4:5], v2, off
.LBB8_1752:
	s_mov_b64 s[4:5], 0
.LBB8_1753:
	s_andn2_b64 vcc, exec, s[4:5]
	s_cbranch_vccnz .LBB8_1755
; %bb.1754:
	s_movk_i32 s4, 0x1ff
	v_and_or_b32 v2, v1, s4, v0
	v_cmp_ne_u32_e32 vcc, 0, v2
	v_cndmask_b32_e64 v2, 0, 1, vcc
	v_lshrrev_b32_e32 v3, 8, v1
	s_movk_i32 s4, 0xffe
	v_bfe_u32 v6, v1, 20, 11
	v_and_or_b32 v2, v3, s4, v2
	v_sub_u32_e32 v7, 0x3f1, v6
	v_or_b32_e32 v3, 0x1000, v2
	v_med3_i32 v7, v7, 0, 13
	v_lshrrev_b32_e32 v8, v7, v3
	v_lshlrev_b32_e32 v7, v7, v8
	v_cmp_ne_u32_e32 vcc, v7, v3
	v_cndmask_b32_e64 v3, 0, 1, vcc
	v_add_u32_e32 v6, 0xfffffc10, v6
	v_or_b32_e32 v3, v8, v3
	v_lshl_or_b32 v7, v6, 12, v2
	v_cmp_gt_i32_e32 vcc, 1, v6
	v_cndmask_b32_e32 v3, v7, v3, vcc
	v_and_b32_e32 v7, 7, v3
	v_cmp_lt_i32_e32 vcc, 5, v7
	v_cndmask_b32_e64 v8, 0, 1, vcc
	v_cmp_eq_u32_e32 vcc, 3, v7
	v_cndmask_b32_e64 v7, 0, 1, vcc
	v_or_b32_e32 v7, v7, v8
	v_lshrrev_b32_e32 v3, 2, v3
	v_add_u32_e32 v3, v3, v7
	v_mov_b32_e32 v7, 0x7c00
	v_cmp_gt_i32_e32 vcc, 31, v6
	v_cndmask_b32_e32 v3, v7, v3, vcc
	v_mov_b32_e32 v8, 0x7e00
	v_cmp_ne_u32_e32 vcc, 0, v2
	s_movk_i32 s4, 0x40f
	v_cndmask_b32_e32 v2, v7, v8, vcc
	v_cmp_eq_u32_e32 vcc, s4, v6
	v_cndmask_b32_e32 v2, v3, v2, vcc
	v_lshrrev_b32_e32 v3, 16, v1
	s_mov_b32 s4, 0x8000
	v_and_or_b32 v2, v3, s4, v2
	global_store_short v[4:5], v2, off
.LBB8_1755:
	s_mov_b64 s[4:5], 0
.LBB8_1756:
	s_andn2_b64 vcc, exec, s[4:5]
	s_cbranch_vccnz .LBB8_1772
; %bb.1757:
	s_cmp_lt_i32 s6, 2
	s_mov_b64 s[4:5], -1
	s_cbranch_scc1 .LBB8_1767
; %bb.1758:
	s_cmp_lt_i32 s6, 3
	s_cbranch_scc1 .LBB8_1764
; %bb.1759:
	s_cmp_gt_i32 s6, 3
	s_cbranch_scc0 .LBB8_1761
; %bb.1760:
	v_trunc_f64_e32 v[2:3], v[0:1]
	s_movk_i32 s4, 0xffe0
	v_ldexp_f64 v[6:7], v[2:3], s4
	s_mov_b32 s4, 0
	s_mov_b32 s5, 0xc1f00000
	v_floor_f64_e32 v[6:7], v[6:7]
	v_fma_f64 v[2:3], v[6:7], s[4:5], v[2:3]
	v_cvt_i32_f64_e32 v7, v[6:7]
	s_mov_b64 s[4:5], 0
	v_cvt_u32_f64_e32 v6, v[2:3]
	global_store_dwordx2 v[4:5], v[6:7], off
.LBB8_1761:
	s_andn2_b64 vcc, exec, s[4:5]
	s_cbranch_vccnz .LBB8_1763
; %bb.1762:
	v_cvt_i32_f64_e32 v2, v[0:1]
	global_store_dword v[4:5], v2, off
.LBB8_1763:
	s_mov_b64 s[4:5], 0
.LBB8_1764:
	s_andn2_b64 vcc, exec, s[4:5]
	s_cbranch_vccnz .LBB8_1766
; %bb.1765:
	v_cvt_i32_f64_e32 v2, v[0:1]
	global_store_short v[4:5], v2, off
.LBB8_1766:
	s_mov_b64 s[4:5], 0
.LBB8_1767:
	s_andn2_b64 vcc, exec, s[4:5]
	s_cbranch_vccnz .LBB8_1772
; %bb.1768:
	s_cmp_gt_i32 s6, 0
	s_mov_b64 s[4:5], -1
	s_cbranch_scc0 .LBB8_1770
; %bb.1769:
	v_cvt_i32_f64_e32 v2, v[0:1]
	s_mov_b64 s[4:5], 0
	global_store_byte v[4:5], v2, off
.LBB8_1770:
	s_andn2_b64 vcc, exec, s[4:5]
	s_cbranch_vccnz .LBB8_1772
; %bb.1771:
	v_trunc_f64_e32 v[0:1], v[0:1]
	s_movk_i32 s4, 0xffe0
	v_ldexp_f64 v[2:3], v[0:1], s4
	s_mov_b32 s4, 0
	s_mov_b32 s5, 0xc1f00000
	v_floor_f64_e32 v[2:3], v[2:3]
	v_fma_f64 v[0:1], v[2:3], s[4:5], v[0:1]
	v_cvt_u32_f64_e32 v0, v[0:1]
	global_store_byte v[4:5], v0, off
.LBB8_1772:
	s_mov_b64 s[8:9], -1
.LBB8_1773:
	s_andn2_b64 vcc, exec, s[8:9]
	s_cbranch_vccnz .LBB8_2088
; %bb.1774:
	s_lshr_b32 s4, s33, 8
	s_and_b32 s38, s4, 0xff
	s_getpc_b64 s[4:5]
	s_add_u32 s4, s4, _ZZZZN2at6native12_GLOBAL__N_121bessel_j1_kernel_cudaERNS_18TensorIteratorBaseEENKUlvE_clEvENKUlvE_clEvENKUldE_clEd@rel32@lo+4
	s_addc_u32 s5, s5, _ZZZZN2at6native12_GLOBAL__N_121bessel_j1_kernel_cudaERNS_18TensorIteratorBaseEENKUlvE_clEvENKUlvE_clEvENKUldE_clEd@rel32@hi+12
	v_mov_b32_e32 v0, v42
	v_mov_b32_e32 v1, v43
	s_swappc_b64 s[30:31], s[4:5]
	v_mov_b32_e32 v2, s37
	v_add_co_u32_e32 v4, vcc, s36, v48
	s_cmp_lt_i32 s38, 11
	v_addc_co_u32_e32 v5, vcc, 0, v2, vcc
	s_cbranch_scc1 .LBB8_1852
; %bb.1775:
	s_and_b32 s14, 0xffff, s38
	s_mov_b64 s[10:11], -1
	s_mov_b64 s[6:7], 0
	s_cmp_gt_i32 s14, 25
	s_mov_b64 s[8:9], 0
	s_mov_b64 s[4:5], 0
	s_cbranch_scc0 .LBB8_1808
; %bb.1776:
	s_cmp_gt_i32 s14, 28
	s_cbranch_scc0 .LBB8_1791
; %bb.1777:
	s_cmp_gt_i32 s14, 43
	;; [unrolled: 3-line block ×3, first 2 shown]
	s_cbranch_scc0 .LBB8_1781
; %bb.1779:
	s_mov_b64 s[4:5], -1
	s_mov_b64 s[10:11], 0
	s_cmp_eq_u32 s14, 46
	s_cbranch_scc0 .LBB8_1781
; %bb.1780:
	v_cvt_f32_f64_e32 v2, v[0:1]
	s_movk_i32 s4, 0x7fff
	v_mov_b32_e32 v3, 0x7fc0
	s_mov_b64 s[8:9], -1
	v_bfe_u32 v6, v2, 16, 1
	v_cmp_o_f32_e32 vcc, v2, v2
	v_add3_u32 v2, v2, v6, s4
	v_cndmask_b32_sdwa v2, v3, v2, vcc dst_sel:DWORD dst_unused:UNUSED_PAD src0_sel:DWORD src1_sel:WORD_1
	global_store_dword v[4:5], v2, off
	s_mov_b64 s[4:5], 0
.LBB8_1781:
	s_and_b64 vcc, exec, s[10:11]
	s_cbranch_vccz .LBB8_1786
; %bb.1782:
	s_cmp_eq_u32 s14, 44
	s_mov_b64 s[4:5], -1
	s_cbranch_scc0 .LBB8_1786
; %bb.1783:
	v_cvt_f32_f64_e32 v2, v[0:1]
	s_movk_i32 s4, 0xff
	v_mov_b32_e32 v6, 0xff
	v_bfe_u32 v3, v2, 23, 8
	v_cmp_ne_u32_e32 vcc, s4, v3
	s_and_saveexec_b64 s[8:9], vcc
; %bb.1784:
	s_mov_b32 s4, 0x3fffff
	v_lshrrev_b32_e32 v6, 23, v2
	v_and_b32_e32 v7, 0x400000, v2
	v_and_or_b32 v2, v2, s4, v3
	v_cmp_ne_u32_e32 vcc, 0, v7
	v_cmp_ne_u32_e64 s[4:5], 0, v2
	s_and_b64 s[4:5], vcc, s[4:5]
	v_cndmask_b32_e64 v2, 0, 1, s[4:5]
	v_add_u32_e32 v6, v6, v2
; %bb.1785:
	s_or_b64 exec, exec, s[8:9]
	s_mov_b64 s[4:5], 0
	s_mov_b64 s[8:9], -1
	global_store_byte v[4:5], v6, off
.LBB8_1786:
	s_mov_b64 s[10:11], 0
.LBB8_1787:
	s_and_b64 vcc, exec, s[10:11]
	s_cbranch_vccz .LBB8_1790
; %bb.1788:
	s_cmp_eq_u32 s14, 29
	s_mov_b64 s[4:5], -1
	s_cbranch_scc0 .LBB8_1790
; %bb.1789:
	v_trunc_f64_e32 v[2:3], v[0:1]
	s_movk_i32 s4, 0xffe0
	s_mov_b64 s[8:9], -1
	v_ldexp_f64 v[6:7], v[2:3], s4
	s_mov_b32 s4, 0
	s_mov_b32 s5, 0xc1f00000
	v_floor_f64_e32 v[6:7], v[6:7]
	v_fma_f64 v[2:3], v[6:7], s[4:5], v[2:3]
	v_cvt_u32_f64_e32 v7, v[6:7]
	s_mov_b64 s[4:5], 0
	v_cvt_u32_f64_e32 v6, v[2:3]
	global_store_dwordx2 v[4:5], v[6:7], off
.LBB8_1790:
	s_mov_b64 s[10:11], 0
.LBB8_1791:
	s_and_b64 vcc, exec, s[10:11]
	s_cbranch_vccz .LBB8_1807
; %bb.1792:
	s_cmp_lt_i32 s14, 27
	s_mov_b64 s[8:9], -1
	s_cbranch_scc1 .LBB8_1798
; %bb.1793:
	s_cmp_gt_i32 s14, 27
	s_cbranch_scc0 .LBB8_1795
; %bb.1794:
	v_cvt_u32_f64_e32 v2, v[0:1]
	s_mov_b64 s[8:9], 0
	global_store_dword v[4:5], v2, off
.LBB8_1795:
	s_andn2_b64 vcc, exec, s[8:9]
	s_cbranch_vccnz .LBB8_1797
; %bb.1796:
	v_cvt_u32_f64_e32 v2, v[0:1]
	global_store_short v[4:5], v2, off
.LBB8_1797:
	s_mov_b64 s[8:9], 0
.LBB8_1798:
	s_andn2_b64 vcc, exec, s[8:9]
	s_cbranch_vccnz .LBB8_1806
; %bb.1799:
	v_cvt_f32_f64_e32 v2, v[0:1]
	s_mov_b32 s8, 0x43800000
	v_mov_b32_e32 v6, 0x80
	v_and_b32_e32 v3, 0x7fffffff, v2
	v_cmp_gt_u32_e32 vcc, s8, v3
	s_and_saveexec_b64 s[8:9], vcc
	s_cbranch_execz .LBB8_1805
; %bb.1800:
	s_mov_b32 s10, 0x3bffffff
	v_cmp_lt_u32_e32 vcc, s10, v3
	s_mov_b64 s[10:11], 0
                                        ; implicit-def: $vgpr3
	s_and_saveexec_b64 s[12:13], vcc
	s_xor_b64 s[12:13], exec, s[12:13]
	s_cbranch_execz .LBB8_2140
; %bb.1801:
	v_bfe_u32 v3, v2, 20, 1
	s_mov_b32 s15, 0x487ffff
	v_add3_u32 v3, v2, v3, s15
	s_mov_b64 s[10:11], exec
	v_lshrrev_b32_e32 v3, 20, v3
	s_andn2_saveexec_b64 s[12:13], s[12:13]
	s_cbranch_execnz .LBB8_2141
.LBB8_1802:
	s_or_b64 exec, exec, s[12:13]
	v_mov_b32_e32 v6, 0
	s_and_saveexec_b64 s[12:13], s[10:11]
.LBB8_1803:
	v_lshrrev_b32_e32 v2, 24, v2
	s_movk_i32 s10, 0x80
	v_and_or_b32 v6, v2, s10, v3
.LBB8_1804:
	s_or_b64 exec, exec, s[12:13]
.LBB8_1805:
	s_or_b64 exec, exec, s[8:9]
	global_store_byte v[4:5], v6, off
.LBB8_1806:
	s_mov_b64 s[8:9], -1
.LBB8_1807:
	s_mov_b64 s[10:11], 0
.LBB8_1808:
	s_and_b64 vcc, exec, s[10:11]
	s_cbranch_vccz .LBB8_1848
; %bb.1809:
	s_cmp_gt_i32 s14, 22
	s_mov_b64 s[6:7], -1
	s_cbranch_scc0 .LBB8_1841
; %bb.1810:
	s_cmp_lt_i32 s14, 24
	s_cbranch_scc1 .LBB8_1830
; %bb.1811:
	s_cmp_gt_i32 s14, 24
	s_cbranch_scc0 .LBB8_1819
; %bb.1812:
	v_cvt_f32_f64_e32 v2, v[0:1]
	s_mov_b32 s6, 0x47800000
	v_mov_b32_e32 v6, 0x80
	v_and_b32_e32 v3, 0x7fffffff, v2
	v_cmp_gt_u32_e32 vcc, s6, v3
	s_and_saveexec_b64 s[6:7], vcc
	s_cbranch_execz .LBB8_1818
; %bb.1813:
	s_mov_b32 s8, 0x37ffffff
	v_cmp_lt_u32_e32 vcc, s8, v3
	s_mov_b64 s[8:9], 0
                                        ; implicit-def: $vgpr3
	s_and_saveexec_b64 s[10:11], vcc
	s_xor_b64 s[10:11], exec, s[10:11]
	s_cbranch_execz .LBB8_2143
; %bb.1814:
	v_bfe_u32 v3, v2, 21, 1
	s_mov_b32 s12, 0x88fffff
	v_add3_u32 v3, v2, v3, s12
	s_mov_b64 s[8:9], exec
	v_lshrrev_b32_e32 v3, 21, v3
	s_andn2_saveexec_b64 s[10:11], s[10:11]
	s_cbranch_execnz .LBB8_2144
.LBB8_1815:
	s_or_b64 exec, exec, s[10:11]
	v_mov_b32_e32 v6, 0
	s_and_saveexec_b64 s[10:11], s[8:9]
.LBB8_1816:
	v_lshrrev_b32_e32 v2, 24, v2
	s_movk_i32 s8, 0x80
	v_and_or_b32 v6, v2, s8, v3
.LBB8_1817:
	s_or_b64 exec, exec, s[10:11]
.LBB8_1818:
	s_or_b64 exec, exec, s[6:7]
	s_mov_b64 s[6:7], 0
	global_store_byte v[4:5], v6, off
.LBB8_1819:
	s_and_b64 vcc, exec, s[6:7]
	s_cbranch_vccz .LBB8_1829
; %bb.1820:
	v_cvt_f32_f64_e32 v2, v[0:1]
	s_mov_b32 s6, 0x43f00000
                                        ; implicit-def: $vgpr3
	v_and_b32_e32 v6, 0x7fffffff, v2
	v_cmp_gt_u32_e32 vcc, s6, v6
	s_and_saveexec_b64 s[6:7], vcc
	s_xor_b64 s[6:7], exec, s[6:7]
	s_cbranch_execz .LBB8_1826
; %bb.1821:
	s_mov_b32 s8, 0x3c7fffff
	v_cmp_lt_u32_e32 vcc, s8, v6
                                        ; implicit-def: $vgpr3
	s_and_saveexec_b64 s[8:9], vcc
	s_xor_b64 s[8:9], exec, s[8:9]
; %bb.1822:
	v_bfe_u32 v3, v2, 20, 1
	s_mov_b32 s10, 0x407ffff
	v_add3_u32 v3, v2, v3, s10
	v_lshrrev_b32_e32 v6, 20, v3
	v_and_b32_e32 v3, 0xff00000, v3
	s_mov_b32 s10, 0x7f00000
	v_mov_b32_e32 v7, 0x7e
	v_cmp_ne_u32_e32 vcc, s10, v3
	v_cndmask_b32_e32 v3, v7, v6, vcc
; %bb.1823:
	s_andn2_saveexec_b64 s[8:9], s[8:9]
; %bb.1824:
	s_mov_b32 s10, 0x46800000
	v_add_f32_e64 v3, |v2|, s10
; %bb.1825:
	s_or_b64 exec, exec, s[8:9]
                                        ; implicit-def: $vgpr6
.LBB8_1826:
	s_andn2_saveexec_b64 s[6:7], s[6:7]
; %bb.1827:
	s_mov_b32 s8, 0x7f800000
	v_mov_b32_e32 v3, 0x7e
	v_mov_b32_e32 v7, 0x7f
	v_cmp_lt_u32_e32 vcc, s8, v6
	v_cndmask_b32_e32 v3, v3, v7, vcc
; %bb.1828:
	s_or_b64 exec, exec, s[6:7]
	v_lshrrev_b32_e32 v2, 24, v2
	s_movk_i32 s6, 0x80
	v_and_or_b32 v2, v2, s6, v3
	global_store_byte v[4:5], v2, off
.LBB8_1829:
	s_mov_b64 s[6:7], 0
.LBB8_1830:
	s_andn2_b64 vcc, exec, s[6:7]
	s_cbranch_vccnz .LBB8_1840
; %bb.1831:
	v_cvt_f32_f64_e32 v2, v[0:1]
	s_mov_b32 s6, 0x47800000
                                        ; implicit-def: $vgpr3
	v_and_b32_e32 v6, 0x7fffffff, v2
	v_cmp_gt_u32_e32 vcc, s6, v6
	s_and_saveexec_b64 s[6:7], vcc
	s_xor_b64 s[6:7], exec, s[6:7]
	s_cbranch_execz .LBB8_1837
; %bb.1832:
	s_mov_b32 s8, 0x387fffff
	v_cmp_lt_u32_e32 vcc, s8, v6
                                        ; implicit-def: $vgpr3
	s_and_saveexec_b64 s[8:9], vcc
	s_xor_b64 s[8:9], exec, s[8:9]
; %bb.1833:
	v_bfe_u32 v3, v2, 21, 1
	s_mov_b32 s10, 0x80fffff
	v_add3_u32 v3, v2, v3, s10
	v_lshrrev_b32_e32 v3, 21, v3
; %bb.1834:
	s_andn2_saveexec_b64 s[8:9], s[8:9]
; %bb.1835:
	s_mov_b32 s10, 0x43000000
	v_add_f32_e64 v3, |v2|, s10
; %bb.1836:
	s_or_b64 exec, exec, s[8:9]
                                        ; implicit-def: $vgpr6
.LBB8_1837:
	s_andn2_saveexec_b64 s[6:7], s[6:7]
; %bb.1838:
	s_mov_b32 s8, 0x7f800000
	v_mov_b32_e32 v3, 0x7c
	v_mov_b32_e32 v7, 0x7f
	v_cmp_lt_u32_e32 vcc, s8, v6
	v_cndmask_b32_e32 v3, v3, v7, vcc
; %bb.1839:
	s_or_b64 exec, exec, s[6:7]
	v_lshrrev_b32_e32 v2, 24, v2
	s_movk_i32 s6, 0x80
	v_and_or_b32 v2, v2, s6, v3
	global_store_byte v[4:5], v2, off
.LBB8_1840:
	s_mov_b64 s[6:7], 0
	s_mov_b64 s[8:9], -1
.LBB8_1841:
	s_andn2_b64 vcc, exec, s[6:7]
	s_mov_b64 s[6:7], 0
	s_cbranch_vccnz .LBB8_1848
; %bb.1842:
	s_cmp_gt_i32 s14, 14
	s_mov_b64 s[10:11], -1
	s_cbranch_scc0 .LBB8_1846
; %bb.1843:
	s_cmp_eq_u32 s14, 15
	s_mov_b64 s[4:5], -1
	s_cbranch_scc0 .LBB8_1845
; %bb.1844:
	v_cvt_f32_f64_e32 v2, v[0:1]
	s_movk_i32 s4, 0x7fff
	v_mov_b32_e32 v3, 0x7fc0
	s_mov_b64 s[8:9], -1
	v_bfe_u32 v6, v2, 16, 1
	v_cmp_o_f32_e32 vcc, v2, v2
	v_add3_u32 v2, v2, v6, s4
	v_cndmask_b32_sdwa v2, v3, v2, vcc dst_sel:DWORD dst_unused:UNUSED_PAD src0_sel:DWORD src1_sel:WORD_1
	global_store_short v[4:5], v2, off
	s_mov_b64 s[4:5], 0
.LBB8_1845:
	s_mov_b64 s[10:11], 0
.LBB8_1846:
	s_and_b64 vcc, exec, s[10:11]
	s_cbranch_vccz .LBB8_1848
; %bb.1847:
	s_cmp_lg_u32 s14, 11
	s_mov_b64 s[6:7], -1
	s_cselect_b64 s[4:5], -1, 0
.LBB8_1848:
	s_and_b64 vcc, exec, s[4:5]
	s_cbranch_vccnz .LBB8_2142
; %bb.1849:
	s_andn2_b64 vcc, exec, s[6:7]
	s_cbranch_vccnz .LBB8_1851
.LBB8_1850:
	v_cmp_neq_f64_e32 vcc, 0, v[0:1]
	s_mov_b64 s[8:9], -1
	v_cndmask_b32_e64 v2, 0, 1, vcc
	global_store_byte v[4:5], v2, off
.LBB8_1851:
	s_mov_b64 s[4:5], 0
	s_branch .LBB8_1853
.LBB8_1852:
	s_mov_b64 s[4:5], -1
	s_mov_b64 s[8:9], 0
.LBB8_1853:
	s_and_b64 vcc, exec, s[4:5]
	s_cbranch_vccz .LBB8_1892
; %bb.1854:
	s_and_b32 s6, 0xffff, s38
	s_cmp_lt_i32 s6, 5
	s_mov_b64 s[4:5], -1
	s_cbranch_scc1 .LBB8_1875
; %bb.1855:
	s_cmp_lt_i32 s6, 8
	s_cbranch_scc1 .LBB8_1865
; %bb.1856:
	s_cmp_lt_i32 s6, 9
	s_cbranch_scc1 .LBB8_1862
; %bb.1857:
	s_cmp_gt_i32 s6, 9
	s_cbranch_scc0 .LBB8_1859
; %bb.1858:
	v_mov_b32_e32 v2, 0
	v_mov_b32_e32 v3, v2
	global_store_dwordx4 v[4:5], v[0:3], off
	s_mov_b64 s[4:5], 0
.LBB8_1859:
	s_andn2_b64 vcc, exec, s[4:5]
	s_cbranch_vccnz .LBB8_1861
; %bb.1860:
	v_cvt_f32_f64_e32 v2, v[0:1]
	v_mov_b32_e32 v3, 0
	global_store_dwordx2 v[4:5], v[2:3], off
.LBB8_1861:
	s_mov_b64 s[4:5], 0
.LBB8_1862:
	s_andn2_b64 vcc, exec, s[4:5]
	s_cbranch_vccnz .LBB8_1864
; %bb.1863:
	s_movk_i32 s4, 0x1ff
	v_and_or_b32 v2, v1, s4, v0
	v_cmp_ne_u32_e32 vcc, 0, v2
	v_cndmask_b32_e64 v2, 0, 1, vcc
	v_lshrrev_b32_e32 v3, 8, v1
	s_movk_i32 s4, 0xffe
	v_bfe_u32 v6, v1, 20, 11
	v_and_or_b32 v2, v3, s4, v2
	v_sub_u32_e32 v7, 0x3f1, v6
	v_or_b32_e32 v3, 0x1000, v2
	v_med3_i32 v7, v7, 0, 13
	v_lshrrev_b32_e32 v8, v7, v3
	v_lshlrev_b32_e32 v7, v7, v8
	v_cmp_ne_u32_e32 vcc, v7, v3
	v_cndmask_b32_e64 v3, 0, 1, vcc
	v_add_u32_e32 v6, 0xfffffc10, v6
	v_or_b32_e32 v3, v8, v3
	v_lshl_or_b32 v7, v6, 12, v2
	v_cmp_gt_i32_e32 vcc, 1, v6
	v_cndmask_b32_e32 v3, v7, v3, vcc
	v_and_b32_e32 v7, 7, v3
	v_cmp_lt_i32_e32 vcc, 5, v7
	v_cndmask_b32_e64 v8, 0, 1, vcc
	v_cmp_eq_u32_e32 vcc, 3, v7
	v_cndmask_b32_e64 v7, 0, 1, vcc
	v_or_b32_e32 v7, v7, v8
	v_lshrrev_b32_e32 v3, 2, v3
	v_add_u32_e32 v3, v3, v7
	v_mov_b32_e32 v7, 0x7c00
	v_cmp_gt_i32_e32 vcc, 31, v6
	v_cndmask_b32_e32 v3, v7, v3, vcc
	v_mov_b32_e32 v8, 0x7e00
	v_cmp_ne_u32_e32 vcc, 0, v2
	s_movk_i32 s4, 0x40f
	v_cndmask_b32_e32 v2, v7, v8, vcc
	v_cmp_eq_u32_e32 vcc, s4, v6
	v_cndmask_b32_e32 v2, v3, v2, vcc
	v_lshrrev_b32_e32 v3, 16, v1
	s_mov_b32 s4, 0x8000
	v_and_or_b32 v2, v3, s4, v2
	v_and_b32_e32 v2, 0xffff, v2
	global_store_dword v[4:5], v2, off
.LBB8_1864:
	s_mov_b64 s[4:5], 0
.LBB8_1865:
	s_andn2_b64 vcc, exec, s[4:5]
	s_cbranch_vccnz .LBB8_1874
; %bb.1866:
	s_cmp_lt_i32 s6, 6
	s_mov_b64 s[4:5], -1
	s_cbranch_scc1 .LBB8_1872
; %bb.1867:
	s_cmp_gt_i32 s6, 6
	s_cbranch_scc0 .LBB8_1869
; %bb.1868:
	global_store_dwordx2 v[4:5], v[0:1], off
	s_mov_b64 s[4:5], 0
.LBB8_1869:
	s_andn2_b64 vcc, exec, s[4:5]
	s_cbranch_vccnz .LBB8_1871
; %bb.1870:
	v_cvt_f32_f64_e32 v2, v[0:1]
	global_store_dword v[4:5], v2, off
.LBB8_1871:
	s_mov_b64 s[4:5], 0
.LBB8_1872:
	s_andn2_b64 vcc, exec, s[4:5]
	s_cbranch_vccnz .LBB8_1874
; %bb.1873:
	s_movk_i32 s4, 0x1ff
	v_and_or_b32 v2, v1, s4, v0
	v_cmp_ne_u32_e32 vcc, 0, v2
	v_cndmask_b32_e64 v2, 0, 1, vcc
	v_lshrrev_b32_e32 v3, 8, v1
	s_movk_i32 s4, 0xffe
	v_bfe_u32 v6, v1, 20, 11
	v_and_or_b32 v2, v3, s4, v2
	v_sub_u32_e32 v7, 0x3f1, v6
	v_or_b32_e32 v3, 0x1000, v2
	v_med3_i32 v7, v7, 0, 13
	v_lshrrev_b32_e32 v8, v7, v3
	v_lshlrev_b32_e32 v7, v7, v8
	v_cmp_ne_u32_e32 vcc, v7, v3
	v_cndmask_b32_e64 v3, 0, 1, vcc
	v_add_u32_e32 v6, 0xfffffc10, v6
	v_or_b32_e32 v3, v8, v3
	v_lshl_or_b32 v7, v6, 12, v2
	v_cmp_gt_i32_e32 vcc, 1, v6
	v_cndmask_b32_e32 v3, v7, v3, vcc
	v_and_b32_e32 v7, 7, v3
	v_cmp_lt_i32_e32 vcc, 5, v7
	v_cndmask_b32_e64 v8, 0, 1, vcc
	v_cmp_eq_u32_e32 vcc, 3, v7
	v_cndmask_b32_e64 v7, 0, 1, vcc
	v_or_b32_e32 v7, v7, v8
	v_lshrrev_b32_e32 v3, 2, v3
	v_add_u32_e32 v3, v3, v7
	v_mov_b32_e32 v7, 0x7c00
	v_cmp_gt_i32_e32 vcc, 31, v6
	v_cndmask_b32_e32 v3, v7, v3, vcc
	v_mov_b32_e32 v8, 0x7e00
	v_cmp_ne_u32_e32 vcc, 0, v2
	s_movk_i32 s4, 0x40f
	v_cndmask_b32_e32 v2, v7, v8, vcc
	v_cmp_eq_u32_e32 vcc, s4, v6
	v_cndmask_b32_e32 v2, v3, v2, vcc
	v_lshrrev_b32_e32 v3, 16, v1
	s_mov_b32 s4, 0x8000
	v_and_or_b32 v2, v3, s4, v2
	global_store_short v[4:5], v2, off
.LBB8_1874:
	s_mov_b64 s[4:5], 0
.LBB8_1875:
	s_andn2_b64 vcc, exec, s[4:5]
	s_cbranch_vccnz .LBB8_1891
; %bb.1876:
	s_cmp_lt_i32 s6, 2
	s_mov_b64 s[4:5], -1
	s_cbranch_scc1 .LBB8_1886
; %bb.1877:
	s_cmp_lt_i32 s6, 3
	s_cbranch_scc1 .LBB8_1883
; %bb.1878:
	s_cmp_gt_i32 s6, 3
	s_cbranch_scc0 .LBB8_1880
; %bb.1879:
	v_trunc_f64_e32 v[2:3], v[0:1]
	s_movk_i32 s4, 0xffe0
	v_ldexp_f64 v[6:7], v[2:3], s4
	s_mov_b32 s4, 0
	s_mov_b32 s5, 0xc1f00000
	v_floor_f64_e32 v[6:7], v[6:7]
	v_fma_f64 v[2:3], v[6:7], s[4:5], v[2:3]
	v_cvt_i32_f64_e32 v7, v[6:7]
	s_mov_b64 s[4:5], 0
	v_cvt_u32_f64_e32 v6, v[2:3]
	global_store_dwordx2 v[4:5], v[6:7], off
.LBB8_1880:
	s_andn2_b64 vcc, exec, s[4:5]
	s_cbranch_vccnz .LBB8_1882
; %bb.1881:
	v_cvt_i32_f64_e32 v2, v[0:1]
	global_store_dword v[4:5], v2, off
.LBB8_1882:
	s_mov_b64 s[4:5], 0
.LBB8_1883:
	s_andn2_b64 vcc, exec, s[4:5]
	s_cbranch_vccnz .LBB8_1885
; %bb.1884:
	v_cvt_i32_f64_e32 v2, v[0:1]
	global_store_short v[4:5], v2, off
.LBB8_1885:
	s_mov_b64 s[4:5], 0
.LBB8_1886:
	s_andn2_b64 vcc, exec, s[4:5]
	s_cbranch_vccnz .LBB8_1891
; %bb.1887:
	s_cmp_gt_i32 s6, 0
	s_mov_b64 s[4:5], -1
	s_cbranch_scc0 .LBB8_1889
; %bb.1888:
	v_cvt_i32_f64_e32 v2, v[0:1]
	s_mov_b64 s[4:5], 0
	global_store_byte v[4:5], v2, off
.LBB8_1889:
	s_andn2_b64 vcc, exec, s[4:5]
	s_cbranch_vccnz .LBB8_1891
; %bb.1890:
	v_trunc_f64_e32 v[0:1], v[0:1]
	s_movk_i32 s4, 0xffe0
	v_ldexp_f64 v[2:3], v[0:1], s4
	s_mov_b32 s4, 0
	s_mov_b32 s5, 0xc1f00000
	v_floor_f64_e32 v[2:3], v[2:3]
	v_fma_f64 v[0:1], v[2:3], s[4:5], v[0:1]
	v_cvt_u32_f64_e32 v0, v[0:1]
	global_store_byte v[4:5], v0, off
.LBB8_1891:
	s_mov_b64 s[8:9], -1
.LBB8_1892:
	s_andn2_b64 vcc, exec, s[8:9]
	s_cbranch_vccnz .LBB8_2088
; %bb.1893:
	s_getpc_b64 s[4:5]
	s_add_u32 s4, s4, _ZZZZN2at6native12_GLOBAL__N_121bessel_j1_kernel_cudaERNS_18TensorIteratorBaseEENKUlvE_clEvENKUlvE_clEvENKUldE_clEd@rel32@lo+4
	s_addc_u32 s5, s5, _ZZZZN2at6native12_GLOBAL__N_121bessel_j1_kernel_cudaERNS_18TensorIteratorBaseEENKUlvE_clEvENKUlvE_clEvENKUldE_clEd@rel32@hi+12
	v_mov_b32_e32 v0, v40
	v_mov_b32_e32 v1, v41
	s_swappc_b64 s[30:31], s[4:5]
	v_mov_b32_e32 v2, s37
	v_add_co_u32_e32 v4, vcc, s36, v46
	s_cmp_lt_i32 s38, 11
	v_addc_co_u32_e32 v5, vcc, 0, v2, vcc
	s_cbranch_scc1 .LBB8_1971
; %bb.1894:
	s_and_b32 s14, 0xffff, s38
	s_mov_b64 s[10:11], -1
	s_mov_b64 s[6:7], 0
	s_cmp_gt_i32 s14, 25
	s_mov_b64 s[8:9], 0
	s_mov_b64 s[4:5], 0
	s_cbranch_scc0 .LBB8_1927
; %bb.1895:
	s_cmp_gt_i32 s14, 28
	s_cbranch_scc0 .LBB8_1910
; %bb.1896:
	s_cmp_gt_i32 s14, 43
	;; [unrolled: 3-line block ×3, first 2 shown]
	s_cbranch_scc0 .LBB8_1900
; %bb.1898:
	s_mov_b64 s[4:5], -1
	s_mov_b64 s[10:11], 0
	s_cmp_eq_u32 s14, 46
	s_cbranch_scc0 .LBB8_1900
; %bb.1899:
	v_cvt_f32_f64_e32 v2, v[0:1]
	s_movk_i32 s4, 0x7fff
	v_mov_b32_e32 v3, 0x7fc0
	s_mov_b64 s[8:9], -1
	v_bfe_u32 v6, v2, 16, 1
	v_cmp_o_f32_e32 vcc, v2, v2
	v_add3_u32 v2, v2, v6, s4
	v_cndmask_b32_sdwa v2, v3, v2, vcc dst_sel:DWORD dst_unused:UNUSED_PAD src0_sel:DWORD src1_sel:WORD_1
	global_store_dword v[4:5], v2, off
	s_mov_b64 s[4:5], 0
.LBB8_1900:
	s_and_b64 vcc, exec, s[10:11]
	s_cbranch_vccz .LBB8_1905
; %bb.1901:
	s_cmp_eq_u32 s14, 44
	s_mov_b64 s[4:5], -1
	s_cbranch_scc0 .LBB8_1905
; %bb.1902:
	v_cvt_f32_f64_e32 v2, v[0:1]
	s_movk_i32 s4, 0xff
	v_mov_b32_e32 v6, 0xff
	v_bfe_u32 v3, v2, 23, 8
	v_cmp_ne_u32_e32 vcc, s4, v3
	s_and_saveexec_b64 s[8:9], vcc
; %bb.1903:
	s_mov_b32 s4, 0x3fffff
	v_lshrrev_b32_e32 v6, 23, v2
	v_and_b32_e32 v7, 0x400000, v2
	v_and_or_b32 v2, v2, s4, v3
	v_cmp_ne_u32_e32 vcc, 0, v7
	v_cmp_ne_u32_e64 s[4:5], 0, v2
	s_and_b64 s[4:5], vcc, s[4:5]
	v_cndmask_b32_e64 v2, 0, 1, s[4:5]
	v_add_u32_e32 v6, v6, v2
; %bb.1904:
	s_or_b64 exec, exec, s[8:9]
	s_mov_b64 s[4:5], 0
	s_mov_b64 s[8:9], -1
	global_store_byte v[4:5], v6, off
.LBB8_1905:
	s_mov_b64 s[10:11], 0
.LBB8_1906:
	s_and_b64 vcc, exec, s[10:11]
	s_cbranch_vccz .LBB8_1909
; %bb.1907:
	s_cmp_eq_u32 s14, 29
	s_mov_b64 s[4:5], -1
	s_cbranch_scc0 .LBB8_1909
; %bb.1908:
	v_trunc_f64_e32 v[2:3], v[0:1]
	s_movk_i32 s4, 0xffe0
	s_mov_b64 s[8:9], -1
	v_ldexp_f64 v[6:7], v[2:3], s4
	s_mov_b32 s4, 0
	s_mov_b32 s5, 0xc1f00000
	v_floor_f64_e32 v[6:7], v[6:7]
	v_fma_f64 v[2:3], v[6:7], s[4:5], v[2:3]
	v_cvt_u32_f64_e32 v7, v[6:7]
	s_mov_b64 s[4:5], 0
	v_cvt_u32_f64_e32 v6, v[2:3]
	global_store_dwordx2 v[4:5], v[6:7], off
.LBB8_1909:
	s_mov_b64 s[10:11], 0
.LBB8_1910:
	s_and_b64 vcc, exec, s[10:11]
	s_cbranch_vccz .LBB8_1926
; %bb.1911:
	s_cmp_lt_i32 s14, 27
	s_mov_b64 s[8:9], -1
	s_cbranch_scc1 .LBB8_1917
; %bb.1912:
	v_cvt_u32_f64_e32 v2, v[0:1]
	s_cmp_gt_i32 s14, 27
	s_cbranch_scc0 .LBB8_1914
; %bb.1913:
	s_mov_b64 s[8:9], 0
	global_store_dword v[4:5], v2, off
.LBB8_1914:
	s_andn2_b64 vcc, exec, s[8:9]
	s_cbranch_vccnz .LBB8_1916
; %bb.1915:
	global_store_short v[4:5], v2, off
.LBB8_1916:
	s_mov_b64 s[8:9], 0
.LBB8_1917:
	s_andn2_b64 vcc, exec, s[8:9]
	s_cbranch_vccnz .LBB8_1925
; %bb.1918:
	v_cvt_f32_f64_e32 v2, v[0:1]
	s_mov_b32 s8, 0x43800000
	v_mov_b32_e32 v6, 0x80
	v_and_b32_e32 v3, 0x7fffffff, v2
	v_cmp_gt_u32_e32 vcc, s8, v3
	s_and_saveexec_b64 s[8:9], vcc
	s_cbranch_execz .LBB8_1924
; %bb.1919:
	s_mov_b32 s10, 0x3bffffff
	v_cmp_lt_u32_e32 vcc, s10, v3
	s_mov_b64 s[10:11], 0
                                        ; implicit-def: $vgpr3
	s_and_saveexec_b64 s[12:13], vcc
	s_xor_b64 s[12:13], exec, s[12:13]
	s_cbranch_execz .LBB8_2145
; %bb.1920:
	v_bfe_u32 v3, v2, 20, 1
	s_mov_b32 s15, 0x487ffff
	v_add3_u32 v3, v2, v3, s15
	s_mov_b64 s[10:11], exec
	v_lshrrev_b32_e32 v3, 20, v3
	s_andn2_saveexec_b64 s[12:13], s[12:13]
	s_cbranch_execnz .LBB8_2146
.LBB8_1921:
	s_or_b64 exec, exec, s[12:13]
	v_mov_b32_e32 v6, 0
	s_and_saveexec_b64 s[12:13], s[10:11]
.LBB8_1922:
	v_lshrrev_b32_e32 v2, 24, v2
	s_movk_i32 s10, 0x80
	v_and_or_b32 v6, v2, s10, v3
.LBB8_1923:
	s_or_b64 exec, exec, s[12:13]
.LBB8_1924:
	s_or_b64 exec, exec, s[8:9]
	global_store_byte v[4:5], v6, off
.LBB8_1925:
	s_mov_b64 s[8:9], -1
.LBB8_1926:
	s_mov_b64 s[10:11], 0
.LBB8_1927:
	s_and_b64 vcc, exec, s[10:11]
	s_cbranch_vccz .LBB8_1967
; %bb.1928:
	s_cmp_gt_i32 s14, 22
	s_mov_b64 s[6:7], -1
	s_cbranch_scc0 .LBB8_1960
; %bb.1929:
	s_cmp_lt_i32 s14, 24
	s_cbranch_scc1 .LBB8_1949
; %bb.1930:
	s_cmp_gt_i32 s14, 24
	s_cbranch_scc0 .LBB8_1938
; %bb.1931:
	v_cvt_f32_f64_e32 v2, v[0:1]
	s_mov_b32 s6, 0x47800000
	v_mov_b32_e32 v6, 0x80
	v_and_b32_e32 v3, 0x7fffffff, v2
	v_cmp_gt_u32_e32 vcc, s6, v3
	s_and_saveexec_b64 s[6:7], vcc
	s_cbranch_execz .LBB8_1937
; %bb.1932:
	s_mov_b32 s8, 0x37ffffff
	v_cmp_lt_u32_e32 vcc, s8, v3
	s_mov_b64 s[8:9], 0
                                        ; implicit-def: $vgpr3
	s_and_saveexec_b64 s[10:11], vcc
	s_xor_b64 s[10:11], exec, s[10:11]
	s_cbranch_execz .LBB8_2148
; %bb.1933:
	v_bfe_u32 v3, v2, 21, 1
	s_mov_b32 s12, 0x88fffff
	v_add3_u32 v3, v2, v3, s12
	s_mov_b64 s[8:9], exec
	v_lshrrev_b32_e32 v3, 21, v3
	s_andn2_saveexec_b64 s[10:11], s[10:11]
	s_cbranch_execnz .LBB8_2149
.LBB8_1934:
	s_or_b64 exec, exec, s[10:11]
	v_mov_b32_e32 v6, 0
	s_and_saveexec_b64 s[10:11], s[8:9]
.LBB8_1935:
	v_lshrrev_b32_e32 v2, 24, v2
	s_movk_i32 s8, 0x80
	v_and_or_b32 v6, v2, s8, v3
.LBB8_1936:
	s_or_b64 exec, exec, s[10:11]
.LBB8_1937:
	s_or_b64 exec, exec, s[6:7]
	s_mov_b64 s[6:7], 0
	global_store_byte v[4:5], v6, off
.LBB8_1938:
	s_and_b64 vcc, exec, s[6:7]
	s_cbranch_vccz .LBB8_1948
; %bb.1939:
	v_cvt_f32_f64_e32 v2, v[0:1]
	s_mov_b32 s6, 0x43f00000
                                        ; implicit-def: $vgpr3
	v_and_b32_e32 v6, 0x7fffffff, v2
	v_cmp_gt_u32_e32 vcc, s6, v6
	s_and_saveexec_b64 s[6:7], vcc
	s_xor_b64 s[6:7], exec, s[6:7]
	s_cbranch_execz .LBB8_1945
; %bb.1940:
	s_mov_b32 s8, 0x3c7fffff
	v_cmp_lt_u32_e32 vcc, s8, v6
                                        ; implicit-def: $vgpr3
	s_and_saveexec_b64 s[8:9], vcc
	s_xor_b64 s[8:9], exec, s[8:9]
; %bb.1941:
	v_bfe_u32 v3, v2, 20, 1
	s_mov_b32 s10, 0x407ffff
	v_add3_u32 v3, v2, v3, s10
	v_lshrrev_b32_e32 v6, 20, v3
	v_and_b32_e32 v3, 0xff00000, v3
	s_mov_b32 s10, 0x7f00000
	v_mov_b32_e32 v7, 0x7e
	v_cmp_ne_u32_e32 vcc, s10, v3
	v_cndmask_b32_e32 v3, v7, v6, vcc
; %bb.1942:
	s_andn2_saveexec_b64 s[8:9], s[8:9]
; %bb.1943:
	s_mov_b32 s10, 0x46800000
	v_add_f32_e64 v3, |v2|, s10
; %bb.1944:
	s_or_b64 exec, exec, s[8:9]
                                        ; implicit-def: $vgpr6
.LBB8_1945:
	s_andn2_saveexec_b64 s[6:7], s[6:7]
; %bb.1946:
	s_mov_b32 s8, 0x7f800000
	v_mov_b32_e32 v3, 0x7e
	v_mov_b32_e32 v7, 0x7f
	v_cmp_lt_u32_e32 vcc, s8, v6
	v_cndmask_b32_e32 v3, v3, v7, vcc
; %bb.1947:
	s_or_b64 exec, exec, s[6:7]
	v_lshrrev_b32_e32 v2, 24, v2
	s_movk_i32 s6, 0x80
	v_and_or_b32 v2, v2, s6, v3
	global_store_byte v[4:5], v2, off
.LBB8_1948:
	s_mov_b64 s[6:7], 0
.LBB8_1949:
	s_andn2_b64 vcc, exec, s[6:7]
	s_cbranch_vccnz .LBB8_1959
; %bb.1950:
	v_cvt_f32_f64_e32 v2, v[0:1]
	s_mov_b32 s6, 0x47800000
                                        ; implicit-def: $vgpr3
	v_and_b32_e32 v6, 0x7fffffff, v2
	v_cmp_gt_u32_e32 vcc, s6, v6
	s_and_saveexec_b64 s[6:7], vcc
	s_xor_b64 s[6:7], exec, s[6:7]
	s_cbranch_execz .LBB8_1956
; %bb.1951:
	s_mov_b32 s8, 0x387fffff
	v_cmp_lt_u32_e32 vcc, s8, v6
                                        ; implicit-def: $vgpr3
	s_and_saveexec_b64 s[8:9], vcc
	s_xor_b64 s[8:9], exec, s[8:9]
; %bb.1952:
	v_bfe_u32 v3, v2, 21, 1
	s_mov_b32 s10, 0x80fffff
	v_add3_u32 v3, v2, v3, s10
	v_lshrrev_b32_e32 v3, 21, v3
; %bb.1953:
	s_andn2_saveexec_b64 s[8:9], s[8:9]
; %bb.1954:
	s_mov_b32 s10, 0x43000000
	v_add_f32_e64 v3, |v2|, s10
; %bb.1955:
	s_or_b64 exec, exec, s[8:9]
                                        ; implicit-def: $vgpr6
.LBB8_1956:
	s_andn2_saveexec_b64 s[6:7], s[6:7]
; %bb.1957:
	s_mov_b32 s8, 0x7f800000
	v_mov_b32_e32 v3, 0x7c
	v_mov_b32_e32 v7, 0x7f
	v_cmp_lt_u32_e32 vcc, s8, v6
	v_cndmask_b32_e32 v3, v3, v7, vcc
; %bb.1958:
	s_or_b64 exec, exec, s[6:7]
	v_lshrrev_b32_e32 v2, 24, v2
	s_movk_i32 s6, 0x80
	v_and_or_b32 v2, v2, s6, v3
	global_store_byte v[4:5], v2, off
.LBB8_1959:
	s_mov_b64 s[6:7], 0
	s_mov_b64 s[8:9], -1
.LBB8_1960:
	s_andn2_b64 vcc, exec, s[6:7]
	s_mov_b64 s[6:7], 0
	s_cbranch_vccnz .LBB8_1967
; %bb.1961:
	s_cmp_gt_i32 s14, 14
	s_mov_b64 s[10:11], -1
	s_cbranch_scc0 .LBB8_1965
; %bb.1962:
	s_cmp_eq_u32 s14, 15
	s_mov_b64 s[4:5], -1
	s_cbranch_scc0 .LBB8_1964
; %bb.1963:
	v_cvt_f32_f64_e32 v2, v[0:1]
	s_movk_i32 s4, 0x7fff
	v_mov_b32_e32 v3, 0x7fc0
	s_mov_b64 s[8:9], -1
	v_bfe_u32 v6, v2, 16, 1
	v_cmp_o_f32_e32 vcc, v2, v2
	v_add3_u32 v2, v2, v6, s4
	v_cndmask_b32_sdwa v2, v3, v2, vcc dst_sel:DWORD dst_unused:UNUSED_PAD src0_sel:DWORD src1_sel:WORD_1
	global_store_short v[4:5], v2, off
	s_mov_b64 s[4:5], 0
.LBB8_1964:
	s_mov_b64 s[10:11], 0
.LBB8_1965:
	s_and_b64 vcc, exec, s[10:11]
	s_cbranch_vccz .LBB8_1967
; %bb.1966:
	s_cmp_lg_u32 s14, 11
	s_mov_b64 s[6:7], -1
	s_cselect_b64 s[4:5], -1, 0
.LBB8_1967:
	s_and_b64 vcc, exec, s[4:5]
	s_cbranch_vccnz .LBB8_2147
; %bb.1968:
	s_andn2_b64 vcc, exec, s[6:7]
	s_cbranch_vccnz .LBB8_1970
.LBB8_1969:
	v_cmp_neq_f64_e32 vcc, 0, v[0:1]
	s_mov_b64 s[8:9], -1
	v_cndmask_b32_e64 v2, 0, 1, vcc
	global_store_byte v[4:5], v2, off
.LBB8_1970:
	s_mov_b64 s[4:5], 0
	s_branch .LBB8_1972
.LBB8_1971:
	s_mov_b64 s[4:5], -1
	s_mov_b64 s[8:9], 0
.LBB8_1972:
	s_and_b64 vcc, exec, s[4:5]
	s_cbranch_vccz .LBB8_2011
; %bb.1973:
	s_and_b32 s6, 0xffff, s38
	s_cmp_lt_i32 s6, 5
	s_mov_b64 s[4:5], -1
	s_cbranch_scc1 .LBB8_1994
; %bb.1974:
	s_cmp_lt_i32 s6, 8
	s_cbranch_scc1 .LBB8_1984
; %bb.1975:
	s_cmp_lt_i32 s6, 9
	s_cbranch_scc1 .LBB8_1981
; %bb.1976:
	s_cmp_gt_i32 s6, 9
	s_cbranch_scc0 .LBB8_1978
; %bb.1977:
	v_mov_b32_e32 v2, 0
	v_mov_b32_e32 v3, v2
	global_store_dwordx4 v[4:5], v[0:3], off
	s_mov_b64 s[4:5], 0
.LBB8_1978:
	s_andn2_b64 vcc, exec, s[4:5]
	s_cbranch_vccnz .LBB8_1980
; %bb.1979:
	v_cvt_f32_f64_e32 v2, v[0:1]
	v_mov_b32_e32 v3, 0
	global_store_dwordx2 v[4:5], v[2:3], off
.LBB8_1980:
	s_mov_b64 s[4:5], 0
.LBB8_1981:
	s_andn2_b64 vcc, exec, s[4:5]
	s_cbranch_vccnz .LBB8_1983
; %bb.1982:
	s_movk_i32 s4, 0x1ff
	v_and_or_b32 v2, v1, s4, v0
	v_cmp_ne_u32_e32 vcc, 0, v2
	v_cndmask_b32_e64 v2, 0, 1, vcc
	v_lshrrev_b32_e32 v3, 8, v1
	s_movk_i32 s4, 0xffe
	v_bfe_u32 v6, v1, 20, 11
	v_and_or_b32 v2, v3, s4, v2
	v_sub_u32_e32 v7, 0x3f1, v6
	v_or_b32_e32 v3, 0x1000, v2
	v_med3_i32 v7, v7, 0, 13
	v_lshrrev_b32_e32 v8, v7, v3
	v_lshlrev_b32_e32 v7, v7, v8
	v_cmp_ne_u32_e32 vcc, v7, v3
	v_cndmask_b32_e64 v3, 0, 1, vcc
	v_add_u32_e32 v6, 0xfffffc10, v6
	v_or_b32_e32 v3, v8, v3
	v_lshl_or_b32 v7, v6, 12, v2
	v_cmp_gt_i32_e32 vcc, 1, v6
	v_cndmask_b32_e32 v3, v7, v3, vcc
	v_and_b32_e32 v7, 7, v3
	v_cmp_lt_i32_e32 vcc, 5, v7
	v_cndmask_b32_e64 v8, 0, 1, vcc
	v_cmp_eq_u32_e32 vcc, 3, v7
	v_cndmask_b32_e64 v7, 0, 1, vcc
	v_or_b32_e32 v7, v7, v8
	v_lshrrev_b32_e32 v3, 2, v3
	v_add_u32_e32 v3, v3, v7
	v_mov_b32_e32 v7, 0x7c00
	v_cmp_gt_i32_e32 vcc, 31, v6
	v_cndmask_b32_e32 v3, v7, v3, vcc
	v_mov_b32_e32 v8, 0x7e00
	v_cmp_ne_u32_e32 vcc, 0, v2
	s_movk_i32 s4, 0x40f
	v_cndmask_b32_e32 v2, v7, v8, vcc
	v_cmp_eq_u32_e32 vcc, s4, v6
	v_cndmask_b32_e32 v2, v3, v2, vcc
	v_lshrrev_b32_e32 v3, 16, v1
	s_mov_b32 s4, 0x8000
	v_and_or_b32 v2, v3, s4, v2
	v_and_b32_e32 v2, 0xffff, v2
	global_store_dword v[4:5], v2, off
.LBB8_1983:
	s_mov_b64 s[4:5], 0
.LBB8_1984:
	s_andn2_b64 vcc, exec, s[4:5]
	s_cbranch_vccnz .LBB8_1993
; %bb.1985:
	s_cmp_lt_i32 s6, 6
	s_mov_b64 s[4:5], -1
	s_cbranch_scc1 .LBB8_1991
; %bb.1986:
	s_cmp_gt_i32 s6, 6
	s_cbranch_scc0 .LBB8_1988
; %bb.1987:
	global_store_dwordx2 v[4:5], v[0:1], off
	s_mov_b64 s[4:5], 0
.LBB8_1988:
	s_andn2_b64 vcc, exec, s[4:5]
	s_cbranch_vccnz .LBB8_1990
; %bb.1989:
	v_cvt_f32_f64_e32 v2, v[0:1]
	global_store_dword v[4:5], v2, off
.LBB8_1990:
	s_mov_b64 s[4:5], 0
.LBB8_1991:
	s_andn2_b64 vcc, exec, s[4:5]
	s_cbranch_vccnz .LBB8_1993
; %bb.1992:
	s_movk_i32 s4, 0x1ff
	v_and_or_b32 v2, v1, s4, v0
	v_cmp_ne_u32_e32 vcc, 0, v2
	v_cndmask_b32_e64 v2, 0, 1, vcc
	v_lshrrev_b32_e32 v3, 8, v1
	s_movk_i32 s4, 0xffe
	v_bfe_u32 v6, v1, 20, 11
	v_and_or_b32 v2, v3, s4, v2
	v_sub_u32_e32 v7, 0x3f1, v6
	v_or_b32_e32 v3, 0x1000, v2
	v_med3_i32 v7, v7, 0, 13
	v_lshrrev_b32_e32 v8, v7, v3
	v_lshlrev_b32_e32 v7, v7, v8
	v_cmp_ne_u32_e32 vcc, v7, v3
	v_cndmask_b32_e64 v3, 0, 1, vcc
	v_add_u32_e32 v6, 0xfffffc10, v6
	v_or_b32_e32 v3, v8, v3
	v_lshl_or_b32 v7, v6, 12, v2
	v_cmp_gt_i32_e32 vcc, 1, v6
	v_cndmask_b32_e32 v3, v7, v3, vcc
	v_and_b32_e32 v7, 7, v3
	v_cmp_lt_i32_e32 vcc, 5, v7
	v_cndmask_b32_e64 v8, 0, 1, vcc
	v_cmp_eq_u32_e32 vcc, 3, v7
	v_cndmask_b32_e64 v7, 0, 1, vcc
	v_or_b32_e32 v7, v7, v8
	v_lshrrev_b32_e32 v3, 2, v3
	v_add_u32_e32 v3, v3, v7
	v_mov_b32_e32 v7, 0x7c00
	v_cmp_gt_i32_e32 vcc, 31, v6
	v_cndmask_b32_e32 v3, v7, v3, vcc
	v_mov_b32_e32 v8, 0x7e00
	v_cmp_ne_u32_e32 vcc, 0, v2
	s_movk_i32 s4, 0x40f
	v_cndmask_b32_e32 v2, v7, v8, vcc
	v_cmp_eq_u32_e32 vcc, s4, v6
	v_cndmask_b32_e32 v2, v3, v2, vcc
	v_lshrrev_b32_e32 v3, 16, v1
	s_mov_b32 s4, 0x8000
	v_and_or_b32 v2, v3, s4, v2
	global_store_short v[4:5], v2, off
.LBB8_1993:
	s_mov_b64 s[4:5], 0
.LBB8_1994:
	s_andn2_b64 vcc, exec, s[4:5]
	s_cbranch_vccnz .LBB8_2010
; %bb.1995:
	s_cmp_lt_i32 s6, 2
	s_mov_b64 s[4:5], -1
	s_cbranch_scc1 .LBB8_2005
; %bb.1996:
	s_cmp_lt_i32 s6, 3
	s_cbranch_scc1 .LBB8_2002
; %bb.1997:
	s_cmp_gt_i32 s6, 3
	s_cbranch_scc0 .LBB8_1999
; %bb.1998:
	v_trunc_f64_e32 v[2:3], v[0:1]
	s_movk_i32 s4, 0xffe0
	v_ldexp_f64 v[6:7], v[2:3], s4
	s_mov_b32 s4, 0
	s_mov_b32 s5, 0xc1f00000
	v_floor_f64_e32 v[6:7], v[6:7]
	v_fma_f64 v[2:3], v[6:7], s[4:5], v[2:3]
	v_cvt_i32_f64_e32 v7, v[6:7]
	s_mov_b64 s[4:5], 0
	v_cvt_u32_f64_e32 v6, v[2:3]
	global_store_dwordx2 v[4:5], v[6:7], off
.LBB8_1999:
	s_andn2_b64 vcc, exec, s[4:5]
	s_cbranch_vccnz .LBB8_2001
; %bb.2000:
	v_cvt_i32_f64_e32 v2, v[0:1]
	global_store_dword v[4:5], v2, off
.LBB8_2001:
	s_mov_b64 s[4:5], 0
.LBB8_2002:
	s_andn2_b64 vcc, exec, s[4:5]
	s_cbranch_vccnz .LBB8_2004
; %bb.2003:
	v_cvt_i32_f64_e32 v2, v[0:1]
	global_store_short v[4:5], v2, off
.LBB8_2004:
	s_mov_b64 s[4:5], 0
.LBB8_2005:
	s_andn2_b64 vcc, exec, s[4:5]
	s_cbranch_vccnz .LBB8_2010
; %bb.2006:
	s_cmp_gt_i32 s6, 0
	s_mov_b64 s[4:5], -1
	s_cbranch_scc0 .LBB8_2008
; %bb.2007:
	v_cvt_i32_f64_e32 v2, v[0:1]
	s_mov_b64 s[4:5], 0
	global_store_byte v[4:5], v2, off
.LBB8_2008:
	s_andn2_b64 vcc, exec, s[4:5]
	s_cbranch_vccnz .LBB8_2010
; %bb.2009:
	v_trunc_f64_e32 v[0:1], v[0:1]
	s_movk_i32 s4, 0xffe0
	v_ldexp_f64 v[2:3], v[0:1], s4
	s_mov_b32 s4, 0
	s_mov_b32 s5, 0xc1f00000
	v_floor_f64_e32 v[2:3], v[2:3]
	v_fma_f64 v[0:1], v[2:3], s[4:5], v[0:1]
	v_cvt_u32_f64_e32 v0, v[0:1]
	global_store_byte v[4:5], v0, off
.LBB8_2010:
	s_mov_b64 s[8:9], -1
.LBB8_2011:
	s_andn2_b64 vcc, exec, s[8:9]
	s_cbranch_vccnz .LBB8_2088
; %bb.2012:
	s_getpc_b64 s[4:5]
	s_add_u32 s4, s4, _ZZZZN2at6native12_GLOBAL__N_121bessel_j1_kernel_cudaERNS_18TensorIteratorBaseEENKUlvE_clEvENKUlvE_clEvENKUldE_clEd@rel32@lo+4
	s_addc_u32 s5, s5, _ZZZZN2at6native12_GLOBAL__N_121bessel_j1_kernel_cudaERNS_18TensorIteratorBaseEENKUlvE_clEvENKUlvE_clEvENKUldE_clEd@rel32@hi+12
	v_mov_b32_e32 v0, v38
	v_mov_b32_e32 v1, v39
	s_swappc_b64 s[30:31], s[4:5]
	v_mov_b32_e32 v2, s37
	v_add_co_u32_e32 v4, vcc, s36, v44
	s_cmp_lt_i32 s38, 11
	v_addc_co_u32_e32 v5, vcc, 0, v2, vcc
	s_cbranch_scc1 .LBB8_2133
; %bb.2013:
	s_and_b32 s14, 0xffff, s38
	s_mov_b64 s[8:9], -1
	s_mov_b64 s[6:7], 0
	s_cmp_gt_i32 s14, 25
	s_mov_b64 s[4:5], 0
	s_cbranch_scc0 .LBB8_2046
; %bb.2014:
	s_cmp_gt_i32 s14, 28
	s_cbranch_scc0 .LBB8_2030
; %bb.2015:
	s_cmp_gt_i32 s14, 43
	;; [unrolled: 3-line block ×3, first 2 shown]
	s_cbranch_scc0 .LBB8_2020
; %bb.2017:
	s_cmp_eq_u32 s14, 46
	s_mov_b64 s[4:5], -1
	s_cbranch_scc0 .LBB8_2019
; %bb.2018:
	v_cvt_f32_f64_e32 v2, v[0:1]
	s_movk_i32 s4, 0x7fff
	v_mov_b32_e32 v3, 0x7fc0
	v_bfe_u32 v6, v2, 16, 1
	v_cmp_o_f32_e32 vcc, v2, v2
	v_add3_u32 v2, v2, v6, s4
	v_cndmask_b32_sdwa v2, v3, v2, vcc dst_sel:DWORD dst_unused:UNUSED_PAD src0_sel:DWORD src1_sel:WORD_1
	global_store_dword v[4:5], v2, off
	s_mov_b64 s[4:5], 0
.LBB8_2019:
	s_mov_b64 s[8:9], 0
.LBB8_2020:
	s_and_b64 vcc, exec, s[8:9]
	s_cbranch_vccz .LBB8_2025
; %bb.2021:
	s_cmp_eq_u32 s14, 44
	s_mov_b64 s[4:5], -1
	s_cbranch_scc0 .LBB8_2025
; %bb.2022:
	v_cvt_f32_f64_e32 v2, v[0:1]
	s_movk_i32 s4, 0xff
	v_mov_b32_e32 v6, 0xff
	v_bfe_u32 v3, v2, 23, 8
	v_cmp_ne_u32_e32 vcc, s4, v3
	s_and_saveexec_b64 s[8:9], vcc
; %bb.2023:
	s_mov_b32 s4, 0x3fffff
	v_lshrrev_b32_e32 v6, 23, v2
	v_and_b32_e32 v7, 0x400000, v2
	v_and_or_b32 v2, v2, s4, v3
	v_cmp_ne_u32_e32 vcc, 0, v7
	v_cmp_ne_u32_e64 s[4:5], 0, v2
	s_and_b64 s[4:5], vcc, s[4:5]
	v_cndmask_b32_e64 v2, 0, 1, s[4:5]
	v_add_u32_e32 v6, v6, v2
; %bb.2024:
	s_or_b64 exec, exec, s[8:9]
	s_mov_b64 s[4:5], 0
	global_store_byte v[4:5], v6, off
.LBB8_2025:
	s_mov_b64 s[8:9], 0
.LBB8_2026:
	s_and_b64 vcc, exec, s[8:9]
	s_cbranch_vccz .LBB8_2029
; %bb.2027:
	s_cmp_eq_u32 s14, 29
	s_mov_b64 s[4:5], -1
	s_cbranch_scc0 .LBB8_2029
; %bb.2028:
	v_trunc_f64_e32 v[2:3], v[0:1]
	s_movk_i32 s4, 0xffe0
	v_ldexp_f64 v[6:7], v[2:3], s4
	s_mov_b32 s4, 0
	s_mov_b32 s5, 0xc1f00000
	v_floor_f64_e32 v[6:7], v[6:7]
	v_fma_f64 v[2:3], v[6:7], s[4:5], v[2:3]
	v_cvt_u32_f64_e32 v7, v[6:7]
	s_mov_b64 s[4:5], 0
	v_cvt_u32_f64_e32 v6, v[2:3]
	global_store_dwordx2 v[4:5], v[6:7], off
.LBB8_2029:
	s_mov_b64 s[8:9], 0
.LBB8_2030:
	s_and_b64 vcc, exec, s[8:9]
	s_cbranch_vccz .LBB8_2045
; %bb.2031:
	s_cmp_lt_i32 s14, 27
	s_mov_b64 s[8:9], -1
	s_cbranch_scc1 .LBB8_2037
; %bb.2032:
	s_cmp_gt_i32 s14, 27
	s_cbranch_scc0 .LBB8_2034
; %bb.2033:
	v_cvt_u32_f64_e32 v2, v[0:1]
	s_mov_b64 s[8:9], 0
	global_store_dword v[4:5], v2, off
.LBB8_2034:
	s_andn2_b64 vcc, exec, s[8:9]
	s_cbranch_vccnz .LBB8_2036
; %bb.2035:
	v_cvt_u32_f64_e32 v2, v[0:1]
	global_store_short v[4:5], v2, off
.LBB8_2036:
	s_mov_b64 s[8:9], 0
.LBB8_2037:
	s_andn2_b64 vcc, exec, s[8:9]
	s_cbranch_vccnz .LBB8_2045
; %bb.2038:
	v_cvt_f32_f64_e32 v2, v[0:1]
	s_mov_b32 s8, 0x43800000
	v_mov_b32_e32 v6, 0x80
	v_and_b32_e32 v3, 0x7fffffff, v2
	v_cmp_gt_u32_e32 vcc, s8, v3
	s_and_saveexec_b64 s[8:9], vcc
	s_cbranch_execz .LBB8_2044
; %bb.2039:
	s_mov_b32 s10, 0x3bffffff
	v_cmp_lt_u32_e32 vcc, s10, v3
	s_mov_b64 s[10:11], 0
                                        ; implicit-def: $vgpr3
	s_and_saveexec_b64 s[12:13], vcc
	s_xor_b64 s[12:13], exec, s[12:13]
	s_cbranch_execz .LBB8_2150
; %bb.2040:
	v_bfe_u32 v3, v2, 20, 1
	s_mov_b32 s15, 0x487ffff
	v_add3_u32 v3, v2, v3, s15
	s_mov_b64 s[10:11], exec
	v_lshrrev_b32_e32 v3, 20, v3
	s_andn2_saveexec_b64 s[12:13], s[12:13]
	s_cbranch_execnz .LBB8_2151
.LBB8_2041:
	s_or_b64 exec, exec, s[12:13]
	v_mov_b32_e32 v6, 0
	s_and_saveexec_b64 s[12:13], s[10:11]
.LBB8_2042:
	v_lshrrev_b32_e32 v2, 24, v2
	s_movk_i32 s10, 0x80
	v_and_or_b32 v6, v2, s10, v3
.LBB8_2043:
	s_or_b64 exec, exec, s[12:13]
.LBB8_2044:
	s_or_b64 exec, exec, s[8:9]
	global_store_byte v[4:5], v6, off
.LBB8_2045:
	s_mov_b64 s[8:9], 0
.LBB8_2046:
	s_and_b64 vcc, exec, s[8:9]
	s_cbranch_vccz .LBB8_2086
; %bb.2047:
	s_cmp_gt_i32 s14, 22
	s_mov_b64 s[6:7], -1
	s_cbranch_scc0 .LBB8_2079
; %bb.2048:
	s_cmp_lt_i32 s14, 24
	s_cbranch_scc1 .LBB8_2068
; %bb.2049:
	s_cmp_gt_i32 s14, 24
	s_cbranch_scc0 .LBB8_2057
; %bb.2050:
	v_cvt_f32_f64_e32 v2, v[0:1]
	s_mov_b32 s6, 0x47800000
	v_mov_b32_e32 v6, 0x80
	v_and_b32_e32 v3, 0x7fffffff, v2
	v_cmp_gt_u32_e32 vcc, s6, v3
	s_and_saveexec_b64 s[6:7], vcc
	s_cbranch_execz .LBB8_2056
; %bb.2051:
	s_mov_b32 s8, 0x37ffffff
	v_cmp_lt_u32_e32 vcc, s8, v3
	s_mov_b64 s[8:9], 0
                                        ; implicit-def: $vgpr3
	s_and_saveexec_b64 s[10:11], vcc
	s_xor_b64 s[10:11], exec, s[10:11]
	s_cbranch_execz .LBB8_2153
; %bb.2052:
	v_bfe_u32 v3, v2, 21, 1
	s_mov_b32 s12, 0x88fffff
	v_add3_u32 v3, v2, v3, s12
	s_mov_b64 s[8:9], exec
	v_lshrrev_b32_e32 v3, 21, v3
	s_andn2_saveexec_b64 s[10:11], s[10:11]
	s_cbranch_execnz .LBB8_2154
.LBB8_2053:
	s_or_b64 exec, exec, s[10:11]
	v_mov_b32_e32 v6, 0
	s_and_saveexec_b64 s[10:11], s[8:9]
.LBB8_2054:
	v_lshrrev_b32_e32 v2, 24, v2
	s_movk_i32 s8, 0x80
	v_and_or_b32 v6, v2, s8, v3
.LBB8_2055:
	s_or_b64 exec, exec, s[10:11]
.LBB8_2056:
	s_or_b64 exec, exec, s[6:7]
	s_mov_b64 s[6:7], 0
	global_store_byte v[4:5], v6, off
.LBB8_2057:
	s_and_b64 vcc, exec, s[6:7]
	s_cbranch_vccz .LBB8_2067
; %bb.2058:
	v_cvt_f32_f64_e32 v2, v[0:1]
	s_mov_b32 s6, 0x43f00000
                                        ; implicit-def: $vgpr3
	v_and_b32_e32 v6, 0x7fffffff, v2
	v_cmp_gt_u32_e32 vcc, s6, v6
	s_and_saveexec_b64 s[6:7], vcc
	s_xor_b64 s[6:7], exec, s[6:7]
	s_cbranch_execz .LBB8_2064
; %bb.2059:
	s_mov_b32 s8, 0x3c7fffff
	v_cmp_lt_u32_e32 vcc, s8, v6
                                        ; implicit-def: $vgpr3
	s_and_saveexec_b64 s[8:9], vcc
	s_xor_b64 s[8:9], exec, s[8:9]
; %bb.2060:
	v_bfe_u32 v3, v2, 20, 1
	s_mov_b32 s10, 0x407ffff
	v_add3_u32 v3, v2, v3, s10
	v_lshrrev_b32_e32 v6, 20, v3
	v_and_b32_e32 v3, 0xff00000, v3
	s_mov_b32 s10, 0x7f00000
	v_mov_b32_e32 v7, 0x7e
	v_cmp_ne_u32_e32 vcc, s10, v3
	v_cndmask_b32_e32 v3, v7, v6, vcc
; %bb.2061:
	s_andn2_saveexec_b64 s[8:9], s[8:9]
; %bb.2062:
	s_mov_b32 s10, 0x46800000
	v_add_f32_e64 v3, |v2|, s10
; %bb.2063:
	s_or_b64 exec, exec, s[8:9]
                                        ; implicit-def: $vgpr6
.LBB8_2064:
	s_andn2_saveexec_b64 s[6:7], s[6:7]
; %bb.2065:
	s_mov_b32 s8, 0x7f800000
	v_mov_b32_e32 v3, 0x7e
	v_mov_b32_e32 v7, 0x7f
	v_cmp_lt_u32_e32 vcc, s8, v6
	v_cndmask_b32_e32 v3, v3, v7, vcc
; %bb.2066:
	s_or_b64 exec, exec, s[6:7]
	v_lshrrev_b32_e32 v2, 24, v2
	s_movk_i32 s6, 0x80
	v_and_or_b32 v2, v2, s6, v3
	global_store_byte v[4:5], v2, off
.LBB8_2067:
	s_mov_b64 s[6:7], 0
.LBB8_2068:
	s_andn2_b64 vcc, exec, s[6:7]
	s_cbranch_vccnz .LBB8_2078
; %bb.2069:
	v_cvt_f32_f64_e32 v2, v[0:1]
	s_mov_b32 s6, 0x47800000
                                        ; implicit-def: $vgpr3
	v_and_b32_e32 v6, 0x7fffffff, v2
	v_cmp_gt_u32_e32 vcc, s6, v6
	s_and_saveexec_b64 s[6:7], vcc
	s_xor_b64 s[6:7], exec, s[6:7]
	s_cbranch_execz .LBB8_2075
; %bb.2070:
	s_mov_b32 s8, 0x387fffff
	v_cmp_lt_u32_e32 vcc, s8, v6
                                        ; implicit-def: $vgpr3
	s_and_saveexec_b64 s[8:9], vcc
	s_xor_b64 s[8:9], exec, s[8:9]
; %bb.2071:
	v_bfe_u32 v3, v2, 21, 1
	s_mov_b32 s10, 0x80fffff
	v_add3_u32 v3, v2, v3, s10
	v_lshrrev_b32_e32 v3, 21, v3
; %bb.2072:
	s_andn2_saveexec_b64 s[8:9], s[8:9]
; %bb.2073:
	s_mov_b32 s10, 0x43000000
	v_add_f32_e64 v3, |v2|, s10
; %bb.2074:
	s_or_b64 exec, exec, s[8:9]
                                        ; implicit-def: $vgpr6
.LBB8_2075:
	s_andn2_saveexec_b64 s[6:7], s[6:7]
; %bb.2076:
	s_mov_b32 s8, 0x7f800000
	v_mov_b32_e32 v3, 0x7c
	v_mov_b32_e32 v7, 0x7f
	v_cmp_lt_u32_e32 vcc, s8, v6
	v_cndmask_b32_e32 v3, v3, v7, vcc
; %bb.2077:
	s_or_b64 exec, exec, s[6:7]
	v_lshrrev_b32_e32 v2, 24, v2
	s_movk_i32 s6, 0x80
	v_and_or_b32 v2, v2, s6, v3
	global_store_byte v[4:5], v2, off
.LBB8_2078:
	s_mov_b64 s[6:7], 0
.LBB8_2079:
	s_andn2_b64 vcc, exec, s[6:7]
	s_mov_b64 s[6:7], 0
	s_cbranch_vccnz .LBB8_2086
; %bb.2080:
	s_cmp_gt_i32 s14, 14
	s_mov_b64 s[8:9], -1
	s_cbranch_scc0 .LBB8_2084
; %bb.2081:
	s_cmp_eq_u32 s14, 15
	s_mov_b64 s[4:5], -1
	s_cbranch_scc0 .LBB8_2083
; %bb.2082:
	v_cvt_f32_f64_e32 v2, v[0:1]
	s_movk_i32 s4, 0x7fff
	v_mov_b32_e32 v3, 0x7fc0
	v_bfe_u32 v6, v2, 16, 1
	v_cmp_o_f32_e32 vcc, v2, v2
	v_add3_u32 v2, v2, v6, s4
	v_cndmask_b32_sdwa v2, v3, v2, vcc dst_sel:DWORD dst_unused:UNUSED_PAD src0_sel:DWORD src1_sel:WORD_1
	global_store_short v[4:5], v2, off
	s_mov_b64 s[4:5], 0
.LBB8_2083:
	s_mov_b64 s[8:9], 0
.LBB8_2084:
	s_and_b64 vcc, exec, s[8:9]
	s_cbranch_vccz .LBB8_2086
; %bb.2085:
	s_cmp_lg_u32 s14, 11
	s_mov_b64 s[6:7], -1
	s_cselect_b64 s[4:5], -1, 0
.LBB8_2086:
	s_and_b64 vcc, exec, s[4:5]
	s_cbranch_vccnz .LBB8_2152
.LBB8_2087:
	s_mov_b64 s[4:5], 0
	s_branch .LBB8_2089
.LBB8_2088:
	s_mov_b64 s[4:5], 0
	s_mov_b64 s[6:7], 0
                                        ; implicit-def: $vgpr4_vgpr5
                                        ; implicit-def: $sgpr38
                                        ; implicit-def: $vgpr0_vgpr1
.LBB8_2089:
	s_and_b64 s[54:55], s[6:7], exec
	s_andn2_b64 s[6:7], s[44:45], exec
	s_and_b64 s[8:9], s[34:35], exec
	s_and_b64 s[4:5], s[4:5], exec
	s_or_b64 s[44:45], s[6:7], s[8:9]
.LBB8_2090:
	s_or_b64 exec, exec, s[46:47]
	s_and_saveexec_b64 s[6:7], s[44:45]
	s_cbranch_execz .LBB8_2093
; %bb.2091:
	; divergent unreachable
	s_or_b64 exec, exec, s[6:7]
	s_and_saveexec_b64 s[6:7], s[54:55]
	s_xor_b64 s[6:7], exec, s[6:7]
	s_cbranch_execnz .LBB8_2094
.LBB8_2092:
	s_or_b64 exec, exec, s[6:7]
	s_and_saveexec_b64 s[6:7], s[4:5]
	s_cbranch_execnz .LBB8_2095
	s_branch .LBB8_2132
.LBB8_2093:
	s_or_b64 exec, exec, s[6:7]
	s_and_saveexec_b64 s[6:7], s[54:55]
	s_xor_b64 s[6:7], exec, s[6:7]
	s_cbranch_execz .LBB8_2092
.LBB8_2094:
	s_waitcnt vmcnt(0)
	v_cmp_neq_f64_e32 vcc, 0, v[0:1]
	v_cndmask_b32_e64 v2, 0, 1, vcc
	global_store_byte v[4:5], v2, off
	s_or_b64 exec, exec, s[6:7]
	s_and_saveexec_b64 s[6:7], s[4:5]
	s_cbranch_execz .LBB8_2132
.LBB8_2095:
	s_sext_i32_i16 s6, s38
	s_cmp_lt_i32 s6, 5
	s_mov_b64 s[4:5], -1
	s_cbranch_scc1 .LBB8_2116
; %bb.2096:
	s_cmp_lt_i32 s6, 8
	s_cbranch_scc1 .LBB8_2106
; %bb.2097:
	s_cmp_lt_i32 s6, 9
	s_cbranch_scc1 .LBB8_2103
; %bb.2098:
	s_cmp_gt_i32 s6, 9
	s_cbranch_scc0 .LBB8_2100
; %bb.2099:
	s_waitcnt vmcnt(0)
	v_mov_b32_e32 v2, 0
	v_mov_b32_e32 v3, v2
	global_store_dwordx4 v[4:5], v[0:3], off
	s_mov_b64 s[4:5], 0
.LBB8_2100:
	s_andn2_b64 vcc, exec, s[4:5]
	s_cbranch_vccnz .LBB8_2102
; %bb.2101:
	s_waitcnt vmcnt(0)
	v_cvt_f32_f64_e32 v2, v[0:1]
	v_mov_b32_e32 v3, 0
	global_store_dwordx2 v[4:5], v[2:3], off
.LBB8_2102:
	s_mov_b64 s[4:5], 0
.LBB8_2103:
	s_andn2_b64 vcc, exec, s[4:5]
	s_cbranch_vccnz .LBB8_2105
; %bb.2104:
	s_movk_i32 s4, 0x1ff
	s_waitcnt vmcnt(0)
	v_and_or_b32 v2, v1, s4, v0
	v_cmp_ne_u32_e32 vcc, 0, v2
	v_cndmask_b32_e64 v2, 0, 1, vcc
	v_lshrrev_b32_e32 v3, 8, v1
	s_movk_i32 s4, 0xffe
	v_bfe_u32 v6, v1, 20, 11
	v_and_or_b32 v2, v3, s4, v2
	v_sub_u32_e32 v7, 0x3f1, v6
	v_or_b32_e32 v3, 0x1000, v2
	v_med3_i32 v7, v7, 0, 13
	v_lshrrev_b32_e32 v8, v7, v3
	v_lshlrev_b32_e32 v7, v7, v8
	v_cmp_ne_u32_e32 vcc, v7, v3
	v_cndmask_b32_e64 v3, 0, 1, vcc
	v_add_u32_e32 v6, 0xfffffc10, v6
	v_or_b32_e32 v3, v8, v3
	v_lshl_or_b32 v7, v6, 12, v2
	v_cmp_gt_i32_e32 vcc, 1, v6
	v_cndmask_b32_e32 v3, v7, v3, vcc
	v_and_b32_e32 v7, 7, v3
	v_cmp_lt_i32_e32 vcc, 5, v7
	v_cndmask_b32_e64 v8, 0, 1, vcc
	v_cmp_eq_u32_e32 vcc, 3, v7
	v_cndmask_b32_e64 v7, 0, 1, vcc
	v_or_b32_e32 v7, v7, v8
	v_lshrrev_b32_e32 v3, 2, v3
	v_add_u32_e32 v3, v3, v7
	v_mov_b32_e32 v7, 0x7c00
	v_cmp_gt_i32_e32 vcc, 31, v6
	v_cndmask_b32_e32 v3, v7, v3, vcc
	v_mov_b32_e32 v8, 0x7e00
	v_cmp_ne_u32_e32 vcc, 0, v2
	s_movk_i32 s4, 0x40f
	v_cndmask_b32_e32 v2, v7, v8, vcc
	v_cmp_eq_u32_e32 vcc, s4, v6
	v_cndmask_b32_e32 v2, v3, v2, vcc
	v_lshrrev_b32_e32 v3, 16, v1
	s_mov_b32 s4, 0x8000
	v_and_or_b32 v2, v3, s4, v2
	v_and_b32_e32 v2, 0xffff, v2
	global_store_dword v[4:5], v2, off
.LBB8_2105:
	s_mov_b64 s[4:5], 0
.LBB8_2106:
	s_andn2_b64 vcc, exec, s[4:5]
	s_cbranch_vccnz .LBB8_2115
; %bb.2107:
	s_sext_i32_i16 s6, s38
	s_cmp_lt_i32 s6, 6
	s_mov_b64 s[4:5], -1
	s_cbranch_scc1 .LBB8_2113
; %bb.2108:
	s_cmp_gt_i32 s6, 6
	s_cbranch_scc0 .LBB8_2110
; %bb.2109:
	s_waitcnt vmcnt(0)
	global_store_dwordx2 v[4:5], v[0:1], off
	s_mov_b64 s[4:5], 0
.LBB8_2110:
	s_andn2_b64 vcc, exec, s[4:5]
	s_cbranch_vccnz .LBB8_2112
; %bb.2111:
	s_waitcnt vmcnt(0)
	v_cvt_f32_f64_e32 v2, v[0:1]
	global_store_dword v[4:5], v2, off
.LBB8_2112:
	s_mov_b64 s[4:5], 0
.LBB8_2113:
	s_andn2_b64 vcc, exec, s[4:5]
	s_cbranch_vccnz .LBB8_2115
; %bb.2114:
	s_movk_i32 s4, 0x1ff
	s_waitcnt vmcnt(0)
	v_and_or_b32 v2, v1, s4, v0
	v_cmp_ne_u32_e32 vcc, 0, v2
	v_cndmask_b32_e64 v2, 0, 1, vcc
	v_lshrrev_b32_e32 v3, 8, v1
	s_movk_i32 s4, 0xffe
	v_bfe_u32 v6, v1, 20, 11
	v_and_or_b32 v2, v3, s4, v2
	v_sub_u32_e32 v7, 0x3f1, v6
	v_or_b32_e32 v3, 0x1000, v2
	v_med3_i32 v7, v7, 0, 13
	v_lshrrev_b32_e32 v8, v7, v3
	v_lshlrev_b32_e32 v7, v7, v8
	v_cmp_ne_u32_e32 vcc, v7, v3
	v_cndmask_b32_e64 v3, 0, 1, vcc
	v_add_u32_e32 v6, 0xfffffc10, v6
	v_or_b32_e32 v3, v8, v3
	v_lshl_or_b32 v7, v6, 12, v2
	v_cmp_gt_i32_e32 vcc, 1, v6
	v_cndmask_b32_e32 v3, v7, v3, vcc
	v_and_b32_e32 v7, 7, v3
	v_cmp_lt_i32_e32 vcc, 5, v7
	v_cndmask_b32_e64 v8, 0, 1, vcc
	v_cmp_eq_u32_e32 vcc, 3, v7
	v_cndmask_b32_e64 v7, 0, 1, vcc
	v_or_b32_e32 v7, v7, v8
	v_lshrrev_b32_e32 v3, 2, v3
	v_add_u32_e32 v3, v3, v7
	v_mov_b32_e32 v7, 0x7c00
	v_cmp_gt_i32_e32 vcc, 31, v6
	v_cndmask_b32_e32 v3, v7, v3, vcc
	v_mov_b32_e32 v8, 0x7e00
	v_cmp_ne_u32_e32 vcc, 0, v2
	s_movk_i32 s4, 0x40f
	v_cndmask_b32_e32 v2, v7, v8, vcc
	v_cmp_eq_u32_e32 vcc, s4, v6
	v_cndmask_b32_e32 v2, v3, v2, vcc
	v_lshrrev_b32_e32 v3, 16, v1
	s_mov_b32 s4, 0x8000
	v_and_or_b32 v2, v3, s4, v2
	global_store_short v[4:5], v2, off
.LBB8_2115:
	s_mov_b64 s[4:5], 0
.LBB8_2116:
	s_andn2_b64 vcc, exec, s[4:5]
	s_cbranch_vccnz .LBB8_2132
; %bb.2117:
	s_sext_i32_i16 s6, s38
	s_cmp_lt_i32 s6, 2
	s_mov_b64 s[4:5], -1
	s_cbranch_scc1 .LBB8_2127
; %bb.2118:
	s_cmp_lt_i32 s6, 3
	s_cbranch_scc1 .LBB8_2124
; %bb.2119:
	s_cmp_gt_i32 s6, 3
	s_cbranch_scc0 .LBB8_2121
; %bb.2120:
	s_waitcnt vmcnt(0)
	v_trunc_f64_e32 v[2:3], v[0:1]
	s_movk_i32 s4, 0xffe0
	v_ldexp_f64 v[6:7], v[2:3], s4
	s_mov_b32 s4, 0
	s_mov_b32 s5, 0xc1f00000
	v_floor_f64_e32 v[6:7], v[6:7]
	v_fma_f64 v[2:3], v[6:7], s[4:5], v[2:3]
	v_cvt_i32_f64_e32 v7, v[6:7]
	s_mov_b64 s[4:5], 0
	v_cvt_u32_f64_e32 v6, v[2:3]
	global_store_dwordx2 v[4:5], v[6:7], off
.LBB8_2121:
	s_andn2_b64 vcc, exec, s[4:5]
	s_cbranch_vccnz .LBB8_2123
; %bb.2122:
	s_waitcnt vmcnt(0)
	v_cvt_i32_f64_e32 v2, v[0:1]
	global_store_dword v[4:5], v2, off
.LBB8_2123:
	s_mov_b64 s[4:5], 0
.LBB8_2124:
	s_andn2_b64 vcc, exec, s[4:5]
	s_cbranch_vccnz .LBB8_2126
; %bb.2125:
	s_waitcnt vmcnt(0)
	v_cvt_i32_f64_e32 v2, v[0:1]
	global_store_short v[4:5], v2, off
.LBB8_2126:
	s_mov_b64 s[4:5], 0
.LBB8_2127:
	s_andn2_b64 vcc, exec, s[4:5]
	s_cbranch_vccnz .LBB8_2132
; %bb.2128:
	s_sext_i32_i16 s4, s38
	s_cmp_gt_i32 s4, 0
	s_mov_b64 s[4:5], -1
	s_cbranch_scc0 .LBB8_2130
; %bb.2129:
	s_waitcnt vmcnt(0)
	v_cvt_i32_f64_e32 v2, v[0:1]
	s_mov_b64 s[4:5], 0
	global_store_byte v[4:5], v2, off
.LBB8_2130:
	s_andn2_b64 vcc, exec, s[4:5]
	s_cbranch_vccnz .LBB8_2132
; %bb.2131:
	s_waitcnt vmcnt(0)
	v_trunc_f64_e32 v[0:1], v[0:1]
	s_movk_i32 s4, 0xffe0
	v_ldexp_f64 v[2:3], v[0:1], s4
	s_mov_b32 s4, 0
	s_mov_b32 s5, 0xc1f00000
	v_floor_f64_e32 v[2:3], v[2:3]
	v_fma_f64 v[0:1], v[2:3], s[4:5], v[0:1]
	v_cvt_u32_f64_e32 v0, v[0:1]
	global_store_byte v[4:5], v0, off
	s_endpgm
.LBB8_2132:
	s_endpgm
.LBB8_2133:
	s_mov_b64 s[6:7], 0
	s_mov_b64 s[4:5], -1
	s_branch .LBB8_2089
.LBB8_2134:
	s_trap 2
	s_or_b64 s[34:35], s[34:35], exec
	s_cbranch_execz .LBB8_1603
	s_branch .LBB8_1604
.LBB8_2135:
	s_andn2_saveexec_b64 s[12:13], s[12:13]
	s_cbranch_execz .LBB8_1683
.LBB8_2136:
	s_mov_b32 s15, 0x46000000
	v_add_f32_e64 v3, |v2|, s15
	v_and_b32_e32 v3, 0xff, v3
	v_cmp_ne_u32_e32 vcc, 0, v3
	s_andn2_b64 s[10:11], s[10:11], exec
	s_and_b64 s[16:17], vcc, exec
	s_or_b64 s[10:11], s[10:11], s[16:17]
	s_or_b64 exec, exec, s[12:13]
	v_mov_b32_e32 v6, 0
	s_and_saveexec_b64 s[12:13], s[10:11]
	s_cbranch_execnz .LBB8_1684
	s_branch .LBB8_1685
.LBB8_2137:
	s_trap 2
	s_or_b64 s[34:35], s[34:35], exec
	s_cbranch_execz .LBB8_1731
	s_branch .LBB8_1732
.LBB8_2138:
	s_andn2_saveexec_b64 s[10:11], s[10:11]
	s_cbranch_execz .LBB8_1696
.LBB8_2139:
	s_mov_b32 s12, 0x42800000
	v_add_f32_e64 v3, |v2|, s12
	v_and_b32_e32 v3, 0xff, v3
	v_cmp_ne_u32_e32 vcc, 0, v3
	s_andn2_b64 s[8:9], s[8:9], exec
	s_and_b64 s[12:13], vcc, exec
	s_or_b64 s[8:9], s[8:9], s[12:13]
	s_or_b64 exec, exec, s[10:11]
	v_mov_b32_e32 v6, 0
	s_and_saveexec_b64 s[10:11], s[8:9]
	s_cbranch_execnz .LBB8_1697
	s_branch .LBB8_1698
.LBB8_2140:
	s_andn2_saveexec_b64 s[12:13], s[12:13]
	s_cbranch_execz .LBB8_1802
.LBB8_2141:
	s_mov_b32 s15, 0x46000000
	v_add_f32_e64 v3, |v2|, s15
	v_and_b32_e32 v3, 0xff, v3
	v_cmp_ne_u32_e32 vcc, 0, v3
	s_andn2_b64 s[10:11], s[10:11], exec
	s_and_b64 s[16:17], vcc, exec
	s_or_b64 s[10:11], s[10:11], s[16:17]
	s_or_b64 exec, exec, s[12:13]
	v_mov_b32_e32 v6, 0
	s_and_saveexec_b64 s[12:13], s[10:11]
	s_cbranch_execnz .LBB8_1803
	s_branch .LBB8_1804
.LBB8_2142:
	s_trap 2
	s_or_b64 s[34:35], s[34:35], exec
	s_cbranch_execz .LBB8_1850
	s_branch .LBB8_1851
.LBB8_2143:
	s_andn2_saveexec_b64 s[10:11], s[10:11]
	s_cbranch_execz .LBB8_1815
.LBB8_2144:
	s_mov_b32 s12, 0x42800000
	v_add_f32_e64 v3, |v2|, s12
	v_and_b32_e32 v3, 0xff, v3
	v_cmp_ne_u32_e32 vcc, 0, v3
	s_andn2_b64 s[8:9], s[8:9], exec
	s_and_b64 s[12:13], vcc, exec
	s_or_b64 s[8:9], s[8:9], s[12:13]
	s_or_b64 exec, exec, s[10:11]
	v_mov_b32_e32 v6, 0
	s_and_saveexec_b64 s[10:11], s[8:9]
	s_cbranch_execnz .LBB8_1816
	s_branch .LBB8_1817
.LBB8_2145:
	s_andn2_saveexec_b64 s[12:13], s[12:13]
	s_cbranch_execz .LBB8_1921
.LBB8_2146:
	s_mov_b32 s15, 0x46000000
	v_add_f32_e64 v3, |v2|, s15
	v_and_b32_e32 v3, 0xff, v3
	v_cmp_ne_u32_e32 vcc, 0, v3
	s_andn2_b64 s[10:11], s[10:11], exec
	s_and_b64 s[16:17], vcc, exec
	s_or_b64 s[10:11], s[10:11], s[16:17]
	s_or_b64 exec, exec, s[12:13]
	v_mov_b32_e32 v6, 0
	s_and_saveexec_b64 s[12:13], s[10:11]
	s_cbranch_execnz .LBB8_1922
	s_branch .LBB8_1923
.LBB8_2147:
	s_trap 2
	s_or_b64 s[34:35], s[34:35], exec
	s_cbranch_execz .LBB8_1969
	s_branch .LBB8_1970
.LBB8_2148:
	s_andn2_saveexec_b64 s[10:11], s[10:11]
	s_cbranch_execz .LBB8_1934
.LBB8_2149:
	s_mov_b32 s12, 0x42800000
	v_add_f32_e64 v3, |v2|, s12
	v_and_b32_e32 v3, 0xff, v3
	v_cmp_ne_u32_e32 vcc, 0, v3
	s_andn2_b64 s[8:9], s[8:9], exec
	s_and_b64 s[12:13], vcc, exec
	s_or_b64 s[8:9], s[8:9], s[12:13]
	s_or_b64 exec, exec, s[10:11]
	v_mov_b32_e32 v6, 0
	s_and_saveexec_b64 s[10:11], s[8:9]
	s_cbranch_execnz .LBB8_1935
	s_branch .LBB8_1936
.LBB8_2150:
	s_andn2_saveexec_b64 s[12:13], s[12:13]
	s_cbranch_execz .LBB8_2041
.LBB8_2151:
	s_mov_b32 s15, 0x46000000
	v_add_f32_e64 v3, |v2|, s15
	v_and_b32_e32 v3, 0xff, v3
	v_cmp_ne_u32_e32 vcc, 0, v3
	s_andn2_b64 s[10:11], s[10:11], exec
	s_and_b64 s[16:17], vcc, exec
	s_or_b64 s[10:11], s[10:11], s[16:17]
	s_or_b64 exec, exec, s[12:13]
	v_mov_b32_e32 v6, 0
	s_and_saveexec_b64 s[12:13], s[10:11]
	s_cbranch_execnz .LBB8_2042
	s_branch .LBB8_2043
.LBB8_2152:
	s_mov_b64 s[6:7], 0
	s_or_b64 s[34:35], s[34:35], exec
	s_trap 2
	s_branch .LBB8_2087
.LBB8_2153:
	s_andn2_saveexec_b64 s[10:11], s[10:11]
	s_cbranch_execz .LBB8_2053
.LBB8_2154:
	s_mov_b32 s12, 0x42800000
	v_add_f32_e64 v3, |v2|, s12
	v_and_b32_e32 v3, 0xff, v3
	v_cmp_ne_u32_e32 vcc, 0, v3
	s_andn2_b64 s[8:9], s[8:9], exec
	s_and_b64 s[12:13], vcc, exec
	s_or_b64 s[8:9], s[8:9], s[12:13]
	s_or_b64 exec, exec, s[10:11]
	v_mov_b32_e32 v6, 0
	s_and_saveexec_b64 s[10:11], s[8:9]
	s_cbranch_execnz .LBB8_2054
	s_branch .LBB8_2055
	.section	.rodata,"a",@progbits
	.p2align	6, 0x0
	.amdhsa_kernel _ZN2at6native32elementwise_kernel_manual_unrollILi128ELi4EZNS0_15gpu_kernel_implIZZZNS0_12_GLOBAL__N_121bessel_j1_kernel_cudaERNS_18TensorIteratorBaseEENKUlvE_clEvENKUlvE_clEvEUldE_EEvS5_RKT_EUlibE0_EEviT1_
		.amdhsa_group_segment_fixed_size 0
		.amdhsa_private_segment_fixed_size 0
		.amdhsa_kernarg_size 360
		.amdhsa_user_sgpr_count 6
		.amdhsa_user_sgpr_private_segment_buffer 1
		.amdhsa_user_sgpr_dispatch_ptr 0
		.amdhsa_user_sgpr_queue_ptr 0
		.amdhsa_user_sgpr_kernarg_segment_ptr 1
		.amdhsa_user_sgpr_dispatch_id 0
		.amdhsa_user_sgpr_flat_scratch_init 0
		.amdhsa_user_sgpr_private_segment_size 0
		.amdhsa_uses_dynamic_stack 0
		.amdhsa_system_sgpr_private_segment_wavefront_offset 0
		.amdhsa_system_sgpr_workgroup_id_x 1
		.amdhsa_system_sgpr_workgroup_id_y 0
		.amdhsa_system_sgpr_workgroup_id_z 0
		.amdhsa_system_sgpr_workgroup_info 0
		.amdhsa_system_vgpr_workitem_id 0
		.amdhsa_next_free_vgpr 52
		.amdhsa_next_free_sgpr 89
		.amdhsa_reserve_vcc 1
		.amdhsa_reserve_flat_scratch 0
		.amdhsa_float_round_mode_32 0
		.amdhsa_float_round_mode_16_64 0
		.amdhsa_float_denorm_mode_32 3
		.amdhsa_float_denorm_mode_16_64 3
		.amdhsa_dx10_clamp 1
		.amdhsa_ieee_mode 1
		.amdhsa_fp16_overflow 0
		.amdhsa_exception_fp_ieee_invalid_op 0
		.amdhsa_exception_fp_denorm_src 0
		.amdhsa_exception_fp_ieee_div_zero 0
		.amdhsa_exception_fp_ieee_overflow 0
		.amdhsa_exception_fp_ieee_underflow 0
		.amdhsa_exception_fp_ieee_inexact 0
		.amdhsa_exception_int_div_zero 0
	.end_amdhsa_kernel
	.section	.text._ZN2at6native32elementwise_kernel_manual_unrollILi128ELi4EZNS0_15gpu_kernel_implIZZZNS0_12_GLOBAL__N_121bessel_j1_kernel_cudaERNS_18TensorIteratorBaseEENKUlvE_clEvENKUlvE_clEvEUldE_EEvS5_RKT_EUlibE0_EEviT1_,"axG",@progbits,_ZN2at6native32elementwise_kernel_manual_unrollILi128ELi4EZNS0_15gpu_kernel_implIZZZNS0_12_GLOBAL__N_121bessel_j1_kernel_cudaERNS_18TensorIteratorBaseEENKUlvE_clEvENKUlvE_clEvEUldE_EEvS5_RKT_EUlibE0_EEviT1_,comdat
.Lfunc_end8:
	.size	_ZN2at6native32elementwise_kernel_manual_unrollILi128ELi4EZNS0_15gpu_kernel_implIZZZNS0_12_GLOBAL__N_121bessel_j1_kernel_cudaERNS_18TensorIteratorBaseEENKUlvE_clEvENKUlvE_clEvEUldE_EEvS5_RKT_EUlibE0_EEviT1_, .Lfunc_end8-_ZN2at6native32elementwise_kernel_manual_unrollILi128ELi4EZNS0_15gpu_kernel_implIZZZNS0_12_GLOBAL__N_121bessel_j1_kernel_cudaERNS_18TensorIteratorBaseEENKUlvE_clEvENKUlvE_clEvEUldE_EEvS5_RKT_EUlibE0_EEviT1_
                                        ; -- End function
	.set _ZN2at6native32elementwise_kernel_manual_unrollILi128ELi4EZNS0_15gpu_kernel_implIZZZNS0_12_GLOBAL__N_121bessel_j1_kernel_cudaERNS_18TensorIteratorBaseEENKUlvE_clEvENKUlvE_clEvEUldE_EEvS5_RKT_EUlibE0_EEviT1_.num_vgpr, max(52, .L_ZZZZN2at6native12_GLOBAL__N_121bessel_j1_kernel_cudaERNS_18TensorIteratorBaseEENKUlvE_clEvENKUlvE_clEvENKUldE_clEd.num_vgpr)
	.set _ZN2at6native32elementwise_kernel_manual_unrollILi128ELi4EZNS0_15gpu_kernel_implIZZZNS0_12_GLOBAL__N_121bessel_j1_kernel_cudaERNS_18TensorIteratorBaseEENKUlvE_clEvENKUlvE_clEvEUldE_EEvS5_RKT_EUlibE0_EEviT1_.num_agpr, max(0, .L_ZZZZN2at6native12_GLOBAL__N_121bessel_j1_kernel_cudaERNS_18TensorIteratorBaseEENKUlvE_clEvENKUlvE_clEvENKUldE_clEd.num_agpr)
	.set _ZN2at6native32elementwise_kernel_manual_unrollILi128ELi4EZNS0_15gpu_kernel_implIZZZNS0_12_GLOBAL__N_121bessel_j1_kernel_cudaERNS_18TensorIteratorBaseEENKUlvE_clEvENKUlvE_clEvEUldE_EEvS5_RKT_EUlibE0_EEviT1_.numbered_sgpr, max(89, .L_ZZZZN2at6native12_GLOBAL__N_121bessel_j1_kernel_cudaERNS_18TensorIteratorBaseEENKUlvE_clEvENKUlvE_clEvENKUldE_clEd.numbered_sgpr)
	.set _ZN2at6native32elementwise_kernel_manual_unrollILi128ELi4EZNS0_15gpu_kernel_implIZZZNS0_12_GLOBAL__N_121bessel_j1_kernel_cudaERNS_18TensorIteratorBaseEENKUlvE_clEvENKUlvE_clEvEUldE_EEvS5_RKT_EUlibE0_EEviT1_.num_named_barrier, max(0, .L_ZZZZN2at6native12_GLOBAL__N_121bessel_j1_kernel_cudaERNS_18TensorIteratorBaseEENKUlvE_clEvENKUlvE_clEvENKUldE_clEd.num_named_barrier)
	.set _ZN2at6native32elementwise_kernel_manual_unrollILi128ELi4EZNS0_15gpu_kernel_implIZZZNS0_12_GLOBAL__N_121bessel_j1_kernel_cudaERNS_18TensorIteratorBaseEENKUlvE_clEvENKUlvE_clEvEUldE_EEvS5_RKT_EUlibE0_EEviT1_.private_seg_size, 0+max(.L_ZZZZN2at6native12_GLOBAL__N_121bessel_j1_kernel_cudaERNS_18TensorIteratorBaseEENKUlvE_clEvENKUlvE_clEvENKUldE_clEd.private_seg_size)
	.set _ZN2at6native32elementwise_kernel_manual_unrollILi128ELi4EZNS0_15gpu_kernel_implIZZZNS0_12_GLOBAL__N_121bessel_j1_kernel_cudaERNS_18TensorIteratorBaseEENKUlvE_clEvENKUlvE_clEvEUldE_EEvS5_RKT_EUlibE0_EEviT1_.uses_vcc, or(1, .L_ZZZZN2at6native12_GLOBAL__N_121bessel_j1_kernel_cudaERNS_18TensorIteratorBaseEENKUlvE_clEvENKUlvE_clEvENKUldE_clEd.uses_vcc)
	.set _ZN2at6native32elementwise_kernel_manual_unrollILi128ELi4EZNS0_15gpu_kernel_implIZZZNS0_12_GLOBAL__N_121bessel_j1_kernel_cudaERNS_18TensorIteratorBaseEENKUlvE_clEvENKUlvE_clEvEUldE_EEvS5_RKT_EUlibE0_EEviT1_.uses_flat_scratch, or(0, .L_ZZZZN2at6native12_GLOBAL__N_121bessel_j1_kernel_cudaERNS_18TensorIteratorBaseEENKUlvE_clEvENKUlvE_clEvENKUldE_clEd.uses_flat_scratch)
	.set _ZN2at6native32elementwise_kernel_manual_unrollILi128ELi4EZNS0_15gpu_kernel_implIZZZNS0_12_GLOBAL__N_121bessel_j1_kernel_cudaERNS_18TensorIteratorBaseEENKUlvE_clEvENKUlvE_clEvEUldE_EEvS5_RKT_EUlibE0_EEviT1_.has_dyn_sized_stack, or(0, .L_ZZZZN2at6native12_GLOBAL__N_121bessel_j1_kernel_cudaERNS_18TensorIteratorBaseEENKUlvE_clEvENKUlvE_clEvENKUldE_clEd.has_dyn_sized_stack)
	.set _ZN2at6native32elementwise_kernel_manual_unrollILi128ELi4EZNS0_15gpu_kernel_implIZZZNS0_12_GLOBAL__N_121bessel_j1_kernel_cudaERNS_18TensorIteratorBaseEENKUlvE_clEvENKUlvE_clEvEUldE_EEvS5_RKT_EUlibE0_EEviT1_.has_recursion, or(0, .L_ZZZZN2at6native12_GLOBAL__N_121bessel_j1_kernel_cudaERNS_18TensorIteratorBaseEENKUlvE_clEvENKUlvE_clEvENKUldE_clEd.has_recursion)
	.set _ZN2at6native32elementwise_kernel_manual_unrollILi128ELi4EZNS0_15gpu_kernel_implIZZZNS0_12_GLOBAL__N_121bessel_j1_kernel_cudaERNS_18TensorIteratorBaseEENKUlvE_clEvENKUlvE_clEvEUldE_EEvS5_RKT_EUlibE0_EEviT1_.has_indirect_call, or(0, .L_ZZZZN2at6native12_GLOBAL__N_121bessel_j1_kernel_cudaERNS_18TensorIteratorBaseEENKUlvE_clEvENKUlvE_clEvENKUldE_clEd.has_indirect_call)
	.section	.AMDGPU.csdata,"",@progbits
; Kernel info:
; codeLenInByte = 41024
; TotalNumSgprs: 93
; NumVgprs: 52
; ScratchSize: 0
; MemoryBound: 1
; FloatMode: 240
; IeeeMode: 1
; LDSByteSize: 0 bytes/workgroup (compile time only)
; SGPRBlocks: 11
; VGPRBlocks: 12
; NumSGPRsForWavesPerEU: 93
; NumVGPRsForWavesPerEU: 52
; Occupancy: 4
; WaveLimiterHint : 1
; COMPUTE_PGM_RSRC2:SCRATCH_EN: 0
; COMPUTE_PGM_RSRC2:USER_SGPR: 6
; COMPUTE_PGM_RSRC2:TRAP_HANDLER: 0
; COMPUTE_PGM_RSRC2:TGID_X_EN: 1
; COMPUTE_PGM_RSRC2:TGID_Y_EN: 0
; COMPUTE_PGM_RSRC2:TGID_Z_EN: 0
; COMPUTE_PGM_RSRC2:TIDIG_COMP_CNT: 0
	.text
	.p2align	2                               ; -- Begin function _ZN3c104guts5applyIRZZZN2at6native12_GLOBAL__N_121bessel_j1_kernel_cudaERNS2_18TensorIteratorBaseEENKUlvE_clEvENKUlvE0_clEvEUlfE_RSt5tupleIJfEEEEDaOT_OT0_
	.type	_ZN3c104guts5applyIRZZZN2at6native12_GLOBAL__N_121bessel_j1_kernel_cudaERNS2_18TensorIteratorBaseEENKUlvE_clEvENKUlvE0_clEvEUlfE_RSt5tupleIJfEEEEDaOT_OT0_,@function
_ZN3c104guts5applyIRZZZN2at6native12_GLOBAL__N_121bessel_j1_kernel_cudaERNS2_18TensorIteratorBaseEENKUlvE_clEvENKUlvE0_clEvEUlfE_RSt5tupleIJfEEEEDaOT_OT0_: ; @_ZN3c104guts5applyIRZZZN2at6native12_GLOBAL__N_121bessel_j1_kernel_cudaERNS2_18TensorIteratorBaseEENKUlvE_clEvENKUlvE0_clEvEUlfE_RSt5tupleIJfEEEEDaOT_OT0_
; %bb.0:
	s_waitcnt vmcnt(0) expcnt(0) lgkmcnt(0)
	v_cmp_ngt_f32_e32 vcc, 0, v0
                                        ; implicit-def: $vgpr1
	s_and_saveexec_b64 s[4:5], vcc
	s_xor_b64 s[10:11], exec, s[4:5]
	s_cbranch_execz .LBB9_6
; %bb.1:
	s_mov_b32 s4, 0x40a00000
	v_cmp_ge_f32_e32 vcc, s4, v0
                                        ; implicit-def: $vgpr1
	s_and_saveexec_b64 s[4:5], vcc
	s_xor_b64 s[4:5], exec, s[4:5]
	s_cbranch_execz .LBB9_3
; %bb.2:
	v_mul_f32_e32 v1, v0, v0
	v_mov_b32_e32 v2, 0xce5691e2
	v_fmac_f32_e32 v2, 0, v1
	v_mov_b32_e32 v3, 0x52d295d0
	v_fmac_f32_e32 v3, v1, v2
	;; [unrolled: 2-line block ×12, first 2 shown]
	v_div_scale_f32 v1, s[6:7], v4, v4, v3
	v_div_scale_f32 v2, vcc, v3, v4, v3
	v_rcp_f32_e32 v5, v1
	v_fma_f32 v6, -v1, v5, 1.0
	v_fmac_f32_e32 v5, v6, v5
	v_mul_f32_e32 v6, v2, v5
	v_fma_f32 v7, -v1, v6, v2
	v_fmac_f32_e32 v6, v7, v5
	v_fma_f32 v1, -v1, v6, v2
	v_div_fmas_f32 v1, v1, v5, v6
	v_mov_b32_e32 v2, 0xc16ae95a
	v_mov_b32_e32 v5, 0xc244dfb3
	v_fmac_f32_e32 v2, v0, v0
	v_fmac_f32_e32 v5, v0, v0
	v_div_fixup_f32 v1, v1, v4, v3
	v_mul_f32_e32 v1, v0, v1
	v_mul_f32_e32 v1, v2, v1
	;; [unrolled: 1-line block ×3, first 2 shown]
                                        ; implicit-def: $vgpr0
.LBB9_3:
	s_andn2_saveexec_b64 s[12:13], s[4:5]
	s_cbranch_execz .LBB9_23
; %bb.4:
	v_add_f32_e32 v1, 0xc016cbe4, v0
	v_and_b32_e32 v2, 0x7fffffff, v1
	s_brev_b32 s4, 18
	v_cmp_nlt_f32_e64 s[14:15], |v1|, s4
	v_lshrrev_b32_e32 v7, 23, v2
                                        ; implicit-def: $vgpr3
                                        ; implicit-def: $vgpr4
	s_and_saveexec_b64 s[4:5], s[14:15]
	s_xor_b64 s[16:17], exec, s[4:5]
	s_cbranch_execz .LBB9_12
; %bb.5:
	v_and_b32_e32 v3, 0x7fffff, v2
	v_or_b32_e32 v6, 0x800000, v3
	s_mov_b32 s4, 0xfe5163ab
	v_mad_u64_u32 v[3:4], s[4:5], v6, s4, 0
	v_mov_b32_e32 v5, 0
	s_mov_b32 s4, 0x3c439041
	v_mad_u64_u32 v[8:9], s[4:5], v6, s4, v[4:5]
	s_mov_b32 s4, 0xdb629599
	v_add_u32_e32 v13, 0xffffff88, v7
	v_mov_b32_e32 v4, v9
	v_mad_u64_u32 v[9:10], s[4:5], v6, s4, v[4:5]
	s_mov_b32 s4, 0xf534ddc0
	v_not_b32_e32 v14, 63
	v_mov_b32_e32 v4, v10
	v_mad_u64_u32 v[10:11], s[4:5], v6, s4, v[4:5]
	s_mov_b32 s4, 0xfc2757d1
	v_cmp_lt_u32_e32 vcc, 63, v13
	v_mov_b32_e32 v4, v11
	v_mad_u64_u32 v[11:12], s[4:5], v6, s4, v[4:5]
	v_cndmask_b32_e32 v4, 0, v14, vcc
	v_add_u32_e32 v14, v4, v13
	v_mov_b32_e32 v4, v12
	s_mov_b32 s4, 0x4e441529
	v_mad_u64_u32 v[12:13], s[4:5], v6, s4, v[4:5]
	v_not_b32_e32 v15, 31
	v_cmp_lt_u32_e64 s[4:5], 31, v14
	v_cndmask_b32_e64 v4, 0, v15, s[4:5]
	v_add_u32_e32 v14, v4, v14
	v_mov_b32_e32 v4, v13
	s_mov_b32 s6, 0xa2f9836e
	v_mad_u64_u32 v[4:5], s[6:7], v6, s6, v[4:5]
	v_cmp_lt_u32_e64 s[6:7], 31, v14
	v_cndmask_b32_e64 v6, 0, v15, s[6:7]
	v_cndmask_b32_e32 v13, v12, v10, vcc
	v_cndmask_b32_e32 v4, v4, v11, vcc
	;; [unrolled: 1-line block ×3, first 2 shown]
	v_add_u32_e32 v6, v6, v14
	v_cndmask_b32_e64 v14, v4, v13, s[4:5]
	v_cndmask_b32_e64 v4, v5, v4, s[4:5]
	v_cndmask_b32_e32 v5, v11, v9, vcc
	v_cndmask_b32_e64 v11, v13, v5, s[4:5]
	v_cndmask_b32_e64 v4, v4, v14, s[6:7]
	;; [unrolled: 1-line block ×3, first 2 shown]
	v_sub_u32_e32 v13, 32, v6
	v_alignbit_b32 v14, v4, v12, v13
	v_cmp_eq_u32_e64 s[8:9], 0, v6
	v_cndmask_b32_e64 v6, v14, v4, s[8:9]
	v_cndmask_b32_e32 v4, v10, v8, vcc
	v_cndmask_b32_e64 v5, v5, v4, s[4:5]
	v_cndmask_b32_e64 v8, v11, v5, s[6:7]
	v_alignbit_b32 v10, v12, v8, v13
	v_cndmask_b32_e32 v3, v9, v3, vcc
	v_cndmask_b32_e64 v10, v10, v12, s[8:9]
	v_bfe_u32 v14, v6, 29, 1
	v_cndmask_b32_e64 v3, v4, v3, s[4:5]
	v_alignbit_b32 v11, v6, v10, 30
	v_sub_u32_e32 v15, 0, v14
	v_cndmask_b32_e64 v3, v5, v3, s[6:7]
	v_xor_b32_e32 v11, v11, v15
	v_alignbit_b32 v4, v8, v3, v13
	v_cndmask_b32_e64 v4, v4, v8, s[8:9]
	v_ffbh_u32_e32 v8, v11
	v_alignbit_b32 v5, v10, v4, 30
	v_min_u32_e32 v8, 32, v8
	v_alignbit_b32 v3, v4, v3, 30
	v_xor_b32_e32 v5, v5, v15
	v_sub_u32_e32 v9, 31, v8
	v_xor_b32_e32 v3, v3, v15
	v_alignbit_b32 v10, v11, v5, v9
	v_alignbit_b32 v3, v5, v3, v9
	;; [unrolled: 1-line block ×3, first 2 shown]
	v_ffbh_u32_e32 v5, v4
	v_min_u32_e32 v5, 32, v5
	v_lshrrev_b32_e32 v12, 29, v6
	v_not_b32_e32 v9, v5
	v_alignbit_b32 v3, v4, v3, v9
	v_lshlrev_b32_e32 v4, 31, v12
	v_or_b32_e32 v9, 0x33000000, v4
	v_add_lshl_u32 v5, v5, v8, 23
	v_lshrrev_b32_e32 v3, 9, v3
	v_sub_u32_e32 v5, v9, v5
	v_or_b32_e32 v4, 0.5, v4
	v_lshlrev_b32_e32 v8, 23, v8
	v_or_b32_e32 v3, v5, v3
	v_lshrrev_b32_e32 v5, 9, v10
	v_sub_u32_e32 v4, v4, v8
	v_or_b32_e32 v4, v5, v4
	s_mov_b32 s4, 0x3fc90fda
	v_mul_f32_e32 v5, 0x3fc90fda, v4
	v_fma_f32 v8, v4, s4, -v5
	v_fmac_f32_e32 v8, 0x33a22168, v4
	v_fmac_f32_e32 v8, 0x3fc90fda, v3
	v_lshrrev_b32_e32 v3, 30, v6
	v_add_f32_e32 v4, v5, v8
	v_add_u32_e32 v3, v14, v3
	s_andn2_saveexec_b64 s[4:5], s[16:17]
	s_cbranch_execz .LBB9_14
	s_branch .LBB9_13
.LBB9_6:
	s_andn2_saveexec_b64 s[10:11], s[10:11]
	s_cbranch_execz .LBB9_24
.LBB9_7:
	s_mov_b32 s4, 0xc0a00000
	v_cmp_le_f32_e32 vcc, s4, v0
                                        ; implicit-def: $vgpr1
	s_and_saveexec_b64 s[4:5], vcc
	s_xor_b64 s[4:5], exec, s[4:5]
	s_cbranch_execz .LBB9_9
; %bb.8:
	v_mul_f32_e32 v1, v0, v0
	v_mov_b32_e32 v2, 0xce5691e2
	v_fmac_f32_e32 v2, 0, v1
	v_mov_b32_e32 v3, 0x52d295d0
	v_fmac_f32_e32 v3, v1, v2
	;; [unrolled: 2-line block ×12, first 2 shown]
	v_div_scale_f32 v1, s[6:7], v4, v4, v3
	v_div_scale_f32 v2, vcc, v3, v4, v3
	v_rcp_f32_e32 v5, v1
	v_fma_f32 v6, -v1, v5, 1.0
	v_fmac_f32_e32 v5, v6, v5
	v_mul_f32_e32 v6, v2, v5
	v_fma_f32 v7, -v1, v6, v2
	v_fmac_f32_e32 v6, v7, v5
	v_fma_f32 v1, -v1, v6, v2
	v_div_fmas_f32 v1, v1, v5, v6
	v_mov_b32_e32 v2, 0xc16ae95a
	v_mov_b32_e32 v5, 0xc244dfb3
	v_fmac_f32_e32 v2, v0, v0
	v_fmac_f32_e32 v5, v0, v0
	v_div_fixup_f32 v1, v1, v4, v3
	v_mul_f32_e64 v1, v1, -v0
	v_mul_f32_e32 v1, v2, v1
	v_mul_f32_e32 v1, v5, v1
                                        ; implicit-def: $vgpr0
.LBB9_9:
	s_andn2_saveexec_b64 s[12:13], s[4:5]
	s_cbranch_execz .LBB9_28
; %bb.10:
	v_sub_f32_e32 v1, 0xc016cbe4, v0
	v_and_b32_e32 v2, 0x7fffffff, v1
	s_brev_b32 s4, 18
	v_cmp_nlt_f32_e64 s[14:15], |v1|, s4
	v_lshrrev_b32_e32 v7, 23, v2
                                        ; implicit-def: $vgpr3
                                        ; implicit-def: $vgpr4
	s_and_saveexec_b64 s[4:5], s[14:15]
	s_xor_b64 s[16:17], exec, s[4:5]
	s_cbranch_execz .LBB9_16
; %bb.11:
	v_and_b32_e32 v3, 0x7fffff, v2
	v_or_b32_e32 v6, 0x800000, v3
	s_mov_b32 s4, 0xfe5163ab
	v_mad_u64_u32 v[3:4], s[4:5], v6, s4, 0
	v_mov_b32_e32 v5, 0
	s_mov_b32 s4, 0x3c439041
	v_mad_u64_u32 v[8:9], s[4:5], v6, s4, v[4:5]
	s_mov_b32 s4, 0xdb629599
	v_add_u32_e32 v13, 0xffffff88, v7
	v_mov_b32_e32 v4, v9
	v_mad_u64_u32 v[9:10], s[4:5], v6, s4, v[4:5]
	s_mov_b32 s4, 0xf534ddc0
	v_not_b32_e32 v14, 63
	v_mov_b32_e32 v4, v10
	v_mad_u64_u32 v[10:11], s[4:5], v6, s4, v[4:5]
	s_mov_b32 s4, 0xfc2757d1
	v_cmp_lt_u32_e32 vcc, 63, v13
	v_mov_b32_e32 v4, v11
	v_mad_u64_u32 v[11:12], s[4:5], v6, s4, v[4:5]
	v_cndmask_b32_e32 v4, 0, v14, vcc
	v_add_u32_e32 v14, v4, v13
	v_mov_b32_e32 v4, v12
	s_mov_b32 s4, 0x4e441529
	v_mad_u64_u32 v[12:13], s[4:5], v6, s4, v[4:5]
	v_not_b32_e32 v15, 31
	v_cmp_lt_u32_e64 s[4:5], 31, v14
	v_cndmask_b32_e64 v4, 0, v15, s[4:5]
	v_add_u32_e32 v14, v4, v14
	v_mov_b32_e32 v4, v13
	s_mov_b32 s6, 0xa2f9836e
	v_mad_u64_u32 v[4:5], s[6:7], v6, s6, v[4:5]
	v_cmp_lt_u32_e64 s[6:7], 31, v14
	v_cndmask_b32_e64 v6, 0, v15, s[6:7]
	v_cndmask_b32_e32 v13, v12, v10, vcc
	v_cndmask_b32_e32 v4, v4, v11, vcc
	;; [unrolled: 1-line block ×3, first 2 shown]
	v_add_u32_e32 v6, v6, v14
	v_cndmask_b32_e64 v14, v4, v13, s[4:5]
	v_cndmask_b32_e64 v4, v5, v4, s[4:5]
	v_cndmask_b32_e32 v5, v11, v9, vcc
	v_cndmask_b32_e64 v11, v13, v5, s[4:5]
	v_cndmask_b32_e64 v4, v4, v14, s[6:7]
	;; [unrolled: 1-line block ×3, first 2 shown]
	v_sub_u32_e32 v13, 32, v6
	v_alignbit_b32 v14, v4, v12, v13
	v_cmp_eq_u32_e64 s[8:9], 0, v6
	v_cndmask_b32_e64 v6, v14, v4, s[8:9]
	v_cndmask_b32_e32 v4, v10, v8, vcc
	v_cndmask_b32_e64 v5, v5, v4, s[4:5]
	v_cndmask_b32_e64 v8, v11, v5, s[6:7]
	v_alignbit_b32 v10, v12, v8, v13
	v_cndmask_b32_e32 v3, v9, v3, vcc
	v_cndmask_b32_e64 v10, v10, v12, s[8:9]
	v_bfe_u32 v14, v6, 29, 1
	v_cndmask_b32_e64 v3, v4, v3, s[4:5]
	v_alignbit_b32 v11, v6, v10, 30
	v_sub_u32_e32 v15, 0, v14
	v_cndmask_b32_e64 v3, v5, v3, s[6:7]
	v_xor_b32_e32 v11, v11, v15
	v_alignbit_b32 v4, v8, v3, v13
	v_cndmask_b32_e64 v4, v4, v8, s[8:9]
	v_ffbh_u32_e32 v8, v11
	v_alignbit_b32 v5, v10, v4, 30
	v_min_u32_e32 v8, 32, v8
	v_alignbit_b32 v3, v4, v3, 30
	v_xor_b32_e32 v5, v5, v15
	v_sub_u32_e32 v9, 31, v8
	v_xor_b32_e32 v3, v3, v15
	v_alignbit_b32 v10, v11, v5, v9
	v_alignbit_b32 v3, v5, v3, v9
	;; [unrolled: 1-line block ×3, first 2 shown]
	v_ffbh_u32_e32 v5, v4
	v_min_u32_e32 v5, 32, v5
	v_lshrrev_b32_e32 v12, 29, v6
	v_not_b32_e32 v9, v5
	v_alignbit_b32 v3, v4, v3, v9
	v_lshlrev_b32_e32 v4, 31, v12
	v_or_b32_e32 v9, 0x33000000, v4
	v_add_lshl_u32 v5, v5, v8, 23
	v_lshrrev_b32_e32 v3, 9, v3
	v_sub_u32_e32 v5, v9, v5
	v_or_b32_e32 v4, 0.5, v4
	v_lshlrev_b32_e32 v8, 23, v8
	v_or_b32_e32 v3, v5, v3
	v_lshrrev_b32_e32 v5, 9, v10
	v_sub_u32_e32 v4, v4, v8
	v_or_b32_e32 v4, v5, v4
	s_mov_b32 s4, 0x3fc90fda
	v_mul_f32_e32 v5, 0x3fc90fda, v4
	v_fma_f32 v8, v4, s4, -v5
	v_fmac_f32_e32 v8, 0x33a22168, v4
	v_fmac_f32_e32 v8, 0x3fc90fda, v3
	v_lshrrev_b32_e32 v3, 30, v6
	v_add_f32_e32 v4, v5, v8
	v_add_u32_e32 v3, v14, v3
	s_andn2_saveexec_b64 s[4:5], s[16:17]
	s_cbranch_execz .LBB9_18
	s_branch .LBB9_17
.LBB9_12:
	s_andn2_saveexec_b64 s[4:5], s[16:17]
	s_cbranch_execz .LBB9_14
.LBB9_13:
	s_mov_b32 s6, 0x3f22f983
	v_mul_f32_e64 v3, |v1|, s6
	v_rndne_f32_e32 v5, v3
	s_mov_b32 s6, 0xbfc90fda
	v_cvt_i32_f32_e32 v3, v5
	v_fma_f32 v4, v5, s6, |v1|
	v_fmac_f32_e32 v4, 0xb3a22168, v5
	v_fmac_f32_e32 v4, 0xa7c234c4, v5
.LBB9_14:
	s_or_b64 exec, exec, s[4:5]
                                        ; implicit-def: $vgpr5
                                        ; implicit-def: $vgpr6
	s_and_saveexec_b64 s[4:5], s[14:15]
	s_xor_b64 s[14:15], exec, s[4:5]
	s_cbranch_execz .LBB9_20
; %bb.15:
	v_and_b32_e32 v5, 0x7fffff, v2
	v_or_b32_e32 v14, 0x800000, v5
	s_mov_b32 s4, 0xfe5163ab
	v_mad_u64_u32 v[5:6], s[4:5], v14, s4, 0
	v_mov_b32_e32 v9, 0
	s_mov_b32 s4, 0x3c439041
	v_mov_b32_e32 v8, v6
	v_mad_u64_u32 v[10:11], s[4:5], v14, s4, v[8:9]
	s_mov_b32 s4, 0xdb629599
	v_add_u32_e32 v15, 0xffffff88, v7
	v_mov_b32_e32 v8, v11
	v_mad_u64_u32 v[11:12], s[4:5], v14, s4, v[8:9]
	s_mov_b32 s4, 0xf534ddc0
	v_not_b32_e32 v16, 63
	v_mov_b32_e32 v8, v12
	v_mad_u64_u32 v[12:13], s[4:5], v14, s4, v[8:9]
	s_mov_b32 s4, 0xfc2757d1
	v_cmp_lt_u32_e32 vcc, 63, v15
	v_mov_b32_e32 v8, v13
	v_mad_u64_u32 v[6:7], s[4:5], v14, s4, v[8:9]
	v_cndmask_b32_e32 v8, 0, v16, vcc
	v_add_u32_e32 v13, v8, v15
	v_mov_b32_e32 v8, v7
	s_mov_b32 s4, 0x4e441529
	v_mad_u64_u32 v[7:8], s[4:5], v14, s4, v[8:9]
	v_not_b32_e32 v15, 31
	v_cmp_lt_u32_e64 s[4:5], 31, v13
	s_mov_b32 s6, 0xa2f9836e
	v_cndmask_b32_e64 v16, 0, v15, s[4:5]
	v_mad_u64_u32 v[8:9], s[6:7], v14, s6, v[8:9]
	v_add_u32_e32 v13, v16, v13
	v_cmp_lt_u32_e64 s[6:7], 31, v13
	v_cndmask_b32_e64 v14, 0, v15, s[6:7]
	v_add_u32_e32 v13, v14, v13
	v_cndmask_b32_e32 v14, v7, v12, vcc
	v_cndmask_b32_e32 v8, v8, v6, vcc
	;; [unrolled: 1-line block ×4, first 2 shown]
	v_cndmask_b32_e64 v15, v8, v14, s[4:5]
	v_cndmask_b32_e64 v7, v7, v8, s[4:5]
	;; [unrolled: 1-line block ×3, first 2 shown]
	v_cndmask_b32_e32 v10, v12, v10, vcc
	v_cndmask_b32_e64 v7, v7, v15, s[6:7]
	v_cndmask_b32_e64 v9, v15, v8, s[6:7]
	v_sub_u32_e32 v14, 32, v13
	v_cndmask_b32_e64 v6, v6, v10, s[4:5]
	v_alignbit_b32 v15, v7, v9, v14
	v_cmp_eq_u32_e64 s[8:9], 0, v13
	v_cndmask_b32_e64 v8, v8, v6, s[6:7]
	v_cndmask_b32_e32 v5, v11, v5, vcc
	v_cndmask_b32_e64 v7, v15, v7, s[8:9]
	v_alignbit_b32 v12, v9, v8, v14
	v_cndmask_b32_e64 v5, v10, v5, s[4:5]
	v_cndmask_b32_e64 v9, v12, v9, s[8:9]
	v_bfe_u32 v15, v7, 29, 1
	v_cndmask_b32_e64 v5, v6, v5, s[6:7]
	v_alignbit_b32 v12, v7, v9, 30
	v_sub_u32_e32 v16, 0, v15
	v_alignbit_b32 v6, v8, v5, v14
	v_xor_b32_e32 v12, v12, v16
	v_cndmask_b32_e64 v6, v6, v8, s[8:9]
	v_alignbit_b32 v8, v9, v6, 30
	v_ffbh_u32_e32 v9, v12
	v_min_u32_e32 v9, 32, v9
	v_alignbit_b32 v5, v6, v5, 30
	v_xor_b32_e32 v8, v8, v16
	v_sub_u32_e32 v10, 31, v9
	v_xor_b32_e32 v5, v5, v16
	v_alignbit_b32 v11, v12, v8, v10
	v_alignbit_b32 v5, v8, v5, v10
	;; [unrolled: 1-line block ×3, first 2 shown]
	v_ffbh_u32_e32 v8, v6
	v_min_u32_e32 v8, 32, v8
	v_lshrrev_b32_e32 v13, 29, v7
	v_not_b32_e32 v10, v8
	v_alignbit_b32 v5, v6, v5, v10
	v_lshlrev_b32_e32 v6, 31, v13
	v_or_b32_e32 v10, 0x33000000, v6
	v_add_lshl_u32 v8, v8, v9, 23
	v_lshrrev_b32_e32 v5, 9, v5
	v_sub_u32_e32 v8, v10, v8
	v_or_b32_e32 v6, 0.5, v6
	v_lshlrev_b32_e32 v9, 23, v9
	v_or_b32_e32 v5, v8, v5
	v_lshrrev_b32_e32 v8, 9, v11
	v_sub_u32_e32 v6, v6, v9
	v_or_b32_e32 v6, v8, v6
	s_mov_b32 s4, 0x3fc90fda
	v_mul_f32_e32 v8, 0x3fc90fda, v6
	v_fma_f32 v9, v6, s4, -v8
	v_fmac_f32_e32 v9, 0x33a22168, v6
	v_fmac_f32_e32 v9, 0x3fc90fda, v5
	v_lshrrev_b32_e32 v5, 30, v7
	v_add_f32_e32 v6, v8, v9
	v_add_u32_e32 v5, v15, v5
	s_andn2_saveexec_b64 s[4:5], s[14:15]
	s_cbranch_execnz .LBB9_21
	s_branch .LBB9_22
.LBB9_16:
	s_andn2_saveexec_b64 s[4:5], s[16:17]
	s_cbranch_execz .LBB9_18
.LBB9_17:
	s_mov_b32 s6, 0x3f22f983
	v_mul_f32_e64 v3, |v1|, s6
	v_rndne_f32_e32 v5, v3
	s_mov_b32 s6, 0xbfc90fda
	v_cvt_i32_f32_e32 v3, v5
	v_fma_f32 v4, v5, s6, |v1|
	v_fmac_f32_e32 v4, 0xb3a22168, v5
	v_fmac_f32_e32 v4, 0xa7c234c4, v5
.LBB9_18:
	s_or_b64 exec, exec, s[4:5]
                                        ; implicit-def: $vgpr5
                                        ; implicit-def: $vgpr6
	s_and_saveexec_b64 s[4:5], s[14:15]
	s_xor_b64 s[14:15], exec, s[4:5]
	s_cbranch_execz .LBB9_25
; %bb.19:
	v_and_b32_e32 v5, 0x7fffff, v2
	v_or_b32_e32 v14, 0x800000, v5
	s_mov_b32 s4, 0xfe5163ab
	v_mad_u64_u32 v[5:6], s[4:5], v14, s4, 0
	v_mov_b32_e32 v9, 0
	s_mov_b32 s4, 0x3c439041
	v_mov_b32_e32 v8, v6
	v_mad_u64_u32 v[10:11], s[4:5], v14, s4, v[8:9]
	s_mov_b32 s4, 0xdb629599
	v_add_u32_e32 v15, 0xffffff88, v7
	v_mov_b32_e32 v8, v11
	v_mad_u64_u32 v[11:12], s[4:5], v14, s4, v[8:9]
	s_mov_b32 s4, 0xf534ddc0
	v_not_b32_e32 v16, 63
	v_mov_b32_e32 v8, v12
	v_mad_u64_u32 v[12:13], s[4:5], v14, s4, v[8:9]
	s_mov_b32 s4, 0xfc2757d1
	v_cmp_lt_u32_e32 vcc, 63, v15
	v_mov_b32_e32 v8, v13
	v_mad_u64_u32 v[6:7], s[4:5], v14, s4, v[8:9]
	v_cndmask_b32_e32 v8, 0, v16, vcc
	v_add_u32_e32 v13, v8, v15
	v_mov_b32_e32 v8, v7
	s_mov_b32 s4, 0x4e441529
	v_mad_u64_u32 v[7:8], s[4:5], v14, s4, v[8:9]
	v_not_b32_e32 v15, 31
	v_cmp_lt_u32_e64 s[4:5], 31, v13
	s_mov_b32 s6, 0xa2f9836e
	v_cndmask_b32_e64 v16, 0, v15, s[4:5]
	v_mad_u64_u32 v[8:9], s[6:7], v14, s6, v[8:9]
	v_add_u32_e32 v13, v16, v13
	v_cmp_lt_u32_e64 s[6:7], 31, v13
	v_cndmask_b32_e64 v14, 0, v15, s[6:7]
	v_add_u32_e32 v13, v14, v13
	v_cndmask_b32_e32 v14, v7, v12, vcc
	v_cndmask_b32_e32 v8, v8, v6, vcc
	;; [unrolled: 1-line block ×4, first 2 shown]
	v_cndmask_b32_e64 v15, v8, v14, s[4:5]
	v_cndmask_b32_e64 v7, v7, v8, s[4:5]
	;; [unrolled: 1-line block ×3, first 2 shown]
	v_cndmask_b32_e32 v10, v12, v10, vcc
	v_cndmask_b32_e64 v7, v7, v15, s[6:7]
	v_cndmask_b32_e64 v9, v15, v8, s[6:7]
	v_sub_u32_e32 v14, 32, v13
	v_cndmask_b32_e64 v6, v6, v10, s[4:5]
	v_alignbit_b32 v15, v7, v9, v14
	v_cmp_eq_u32_e64 s[8:9], 0, v13
	v_cndmask_b32_e64 v8, v8, v6, s[6:7]
	v_cndmask_b32_e32 v5, v11, v5, vcc
	v_cndmask_b32_e64 v7, v15, v7, s[8:9]
	v_alignbit_b32 v12, v9, v8, v14
	v_cndmask_b32_e64 v5, v10, v5, s[4:5]
	v_cndmask_b32_e64 v9, v12, v9, s[8:9]
	v_bfe_u32 v15, v7, 29, 1
	v_cndmask_b32_e64 v5, v6, v5, s[6:7]
	v_alignbit_b32 v12, v7, v9, 30
	v_sub_u32_e32 v16, 0, v15
	v_alignbit_b32 v6, v8, v5, v14
	v_xor_b32_e32 v12, v12, v16
	v_cndmask_b32_e64 v6, v6, v8, s[8:9]
	v_alignbit_b32 v8, v9, v6, 30
	v_ffbh_u32_e32 v9, v12
	v_min_u32_e32 v9, 32, v9
	v_alignbit_b32 v5, v6, v5, 30
	v_xor_b32_e32 v8, v8, v16
	v_sub_u32_e32 v10, 31, v9
	v_xor_b32_e32 v5, v5, v16
	v_alignbit_b32 v11, v12, v8, v10
	v_alignbit_b32 v5, v8, v5, v10
	;; [unrolled: 1-line block ×3, first 2 shown]
	v_ffbh_u32_e32 v8, v6
	v_min_u32_e32 v8, 32, v8
	v_lshrrev_b32_e32 v13, 29, v7
	v_not_b32_e32 v10, v8
	v_alignbit_b32 v5, v6, v5, v10
	v_lshlrev_b32_e32 v6, 31, v13
	v_or_b32_e32 v10, 0x33000000, v6
	v_add_lshl_u32 v8, v8, v9, 23
	v_lshrrev_b32_e32 v5, 9, v5
	v_sub_u32_e32 v8, v10, v8
	v_or_b32_e32 v6, 0.5, v6
	v_lshlrev_b32_e32 v9, 23, v9
	v_or_b32_e32 v5, v8, v5
	v_lshrrev_b32_e32 v8, 9, v11
	v_sub_u32_e32 v6, v6, v9
	v_or_b32_e32 v6, v8, v6
	s_mov_b32 s4, 0x3fc90fda
	v_mul_f32_e32 v8, 0x3fc90fda, v6
	v_fma_f32 v9, v6, s4, -v8
	v_fmac_f32_e32 v9, 0x33a22168, v6
	v_fmac_f32_e32 v9, 0x3fc90fda, v5
	v_lshrrev_b32_e32 v5, 30, v7
	v_add_f32_e32 v6, v8, v9
	v_add_u32_e32 v5, v15, v5
	s_andn2_saveexec_b64 s[4:5], s[14:15]
	s_cbranch_execnz .LBB9_26
	s_branch .LBB9_27
.LBB9_20:
	s_andn2_saveexec_b64 s[4:5], s[14:15]
	s_cbranch_execz .LBB9_22
.LBB9_21:
	s_mov_b32 s6, 0x3f22f983
	v_mul_f32_e64 v5, |v1|, s6
	v_rndne_f32_e32 v7, v5
	s_mov_b32 s6, 0xbfc90fda
	v_cvt_i32_f32_e32 v5, v7
	v_fma_f32 v6, v7, s6, |v1|
	v_fmac_f32_e32 v6, 0xb3a22168, v7
	v_fmac_f32_e32 v6, 0xa7c234c4, v7
.LBB9_22:
	s_or_b64 exec, exec, s[4:5]
	s_mov_b32 s6, 0x40a00000
	v_div_scale_f32 v7, s[4:5], v0, v0, s6
	v_div_scale_f32 v8, vcc, s6, v0, s6
	v_mov_b32_e32 v14, 0x3a15c4d9
	v_mov_b32_e32 v15, 0x3d8cfeeb
	;; [unrolled: 1-line block ×7, first 2 shown]
	v_rcp_f32_e32 v9, v7
	v_fma_f32 v10, -v7, v9, 1.0
	v_fmac_f32_e32 v9, v10, v9
	v_mul_f32_e32 v10, v8, v9
	v_fma_f32 v11, -v7, v10, v8
	v_fmac_f32_e32 v10, v11, v9
	v_fma_f32 v7, -v7, v10, v8
	v_div_fmas_f32 v7, v7, v9, v10
	v_mov_b32_e32 v8, 0x3a47c962
	v_mov_b32_e32 v9, 0x3d95ca45
	;; [unrolled: 1-line block ×4, first 2 shown]
	v_div_fixup_f32 v7, v7, v0, s6
	v_mul_f32_e32 v19, v7, v7
	v_fmac_f32_e32 v8, 0, v19
	v_fmac_f32_e32 v9, v19, v8
	v_mov_b32_e32 v8, 0x3d513fd3
	v_fmac_f32_e32 v14, 0, v19
	v_fmac_f32_e32 v15, v19, v14
	v_mov_b32_e32 v14, 0x409f6dae
	v_fmac_f32_e32 v8, 0, v19
	v_fmac_f32_e32 v14, v19, v8
	;; [unrolled: 1-line block ×3, first 2 shown]
	v_mov_b32_e32 v9, 0x4297a5cd
	v_fmac_f32_e32 v16, v19, v15
	v_mov_b32_e32 v15, 0x43b763ca
	v_fmac_f32_e32 v9, v19, v14
	v_mov_b32_e32 v14, 0x4431b6ce
	v_fmac_f32_e32 v11, v19, v10
	v_fmac_f32_e32 v17, v19, v16
	v_fmac_f32_e32 v15, v19, v9
	v_mov_b32_e32 v8, 0x40a6b6ea
	v_mov_b32_e32 v10, 0x44155f56
	v_fmac_f32_e32 v12, v19, v11
	v_fmac_f32_e32 v18, v19, v17
	;; [unrolled: 1-line block ×6, first 2 shown]
	v_mov_b32_e32 v9, 0x4353b052
	v_fma_f32 v8, v19, v8, 1.0
	v_fmac_f32_e32 v9, v19, v10
	v_fma_f32 v10, v19, v13, 1.0
	v_div_scale_f32 v11, s[4:5], v8, v8, v10
	v_div_scale_f32 v13, vcc, v10, v8, v10
	v_mov_b32_e32 v12, 0x41c9a7fa
	v_fmac_f32_e32 v12, v19, v9
	v_mov_b32_e32 v9, 0x42947983
	v_fmac_f32_e32 v9, 0, v19
	;; [unrolled: 2-line block ×6, first 2 shown]
	v_rcp_f32_e32 v15, v11
	v_mov_b32_e32 v14, 0x4530a316
	v_fmac_f32_e32 v14, v19, v9
	v_mov_b32_e32 v9, 0x43a80bfb
	v_fmac_f32_e32 v9, v19, v14
	v_fma_f32 v14, -v11, v15, 1.0
	v_fmac_f32_e32 v15, v14, v15
	v_mul_f32_e32 v14, v13, v15
	v_fma_f32 v16, -v11, v14, v13
	v_fmac_f32_e32 v14, v16, v15
	v_fma_f32 v11, -v11, v14, v13
	v_div_fmas_f32 v11, v11, v15, v14
	v_div_scale_f32 v13, s[4:5], v9, v9, v12
	v_div_scale_f32 v14, vcc, v12, v9, v12
	v_mul_f32_e32 v15, v4, v4
	v_mov_b32_e32 v17, 0x3c0881c4
	v_mov_b32_e32 v18, 0xbe2aaa9d
	v_fmac_f32_e32 v17, 0xb94c1982, v15
	v_mov_b32_e32 v16, 0x3c0881c4
	s_movk_i32 s4, 0x1f8
	v_div_fixup_f32 v8, v11, v8, v10
	v_rcp_f32_e32 v11, v13
	v_fma_f32 v10, v15, v17, v18
	v_mul_f32_e32 v10, v15, v10
	v_fmac_f32_e32 v4, v4, v10
	v_fma_f32 v17, -v13, v11, 1.0
	v_fmac_f32_e32 v11, v17, v11
	v_mul_f32_e32 v17, v14, v11
	v_fma_f32 v19, -v13, v17, v14
	v_fmac_f32_e32 v17, v19, v11
	v_fma_f32 v13, -v13, v17, v14
	v_div_fmas_f32 v11, v13, v11, v17
	v_mov_b32_e32 v19, 0xbab64f3b
	v_fmac_f32_e32 v19, 0x37d75334, v15
	v_mov_b32_e32 v13, 0x3d2aabf7
	v_mov_b32_e32 v10, 0xbab64f3b
	v_fma_f32 v14, v15, v19, v13
	v_mov_b32_e32 v17, 0xbf000004
	v_fma_f32 v14, v15, v14, v17
	v_fma_f32 v14, v15, v14, 1.0
	v_and_b32_e32 v15, 1, v3
	v_cmp_eq_u32_e32 vcc, 0, v15
	v_cndmask_b32_e64 v4, -v4, v14, vcc
	v_lshlrev_b32_e32 v3, 30, v3
	v_cmp_class_f32_e64 vcc, v1, s4
	v_xor_b32_e32 v1, v2, v1
	v_and_b32_e32 v3, 0x80000000, v3
	v_div_fixup_f32 v9, v11, v9, v12
	v_mul_f32_e32 v7, v7, v9
	v_mul_f32_e32 v9, v6, v6
	v_fmac_f32_e32 v16, 0xb94c1982, v9
	v_fmac_f32_e32 v10, 0x37d75334, v9
	;; [unrolled: 1-line block ×4, first 2 shown]
	v_mul_f32_e32 v11, v9, v18
	v_fmac_f32_e32 v17, v9, v13
	v_and_b32_e32 v10, 1, v5
	v_lshlrev_b32_e32 v5, 30, v5
	v_fmac_f32_e32 v6, v6, v11
	v_fma_f32 v9, v9, v17, 1.0
	v_cmp_eq_u32_e64 s[4:5], 0, v10
	v_and_b32_e32 v5, 0x80000000, v5
	v_cndmask_b32_e64 v6, v9, v6, s[4:5]
	v_xor_b32_e32 v1, v1, v5
	v_xor_b32_e32 v3, v3, v4
	v_mov_b32_e32 v4, 0x7fc00000
	v_xor_b32_e32 v1, v1, v6
	s_mov_b32 s4, 0xf800000
	v_cndmask_b32_e32 v3, v4, v3, vcc
	v_cndmask_b32_e32 v1, v4, v1, vcc
	v_mul_f32_e32 v2, 0x4f800000, v0
	v_cmp_gt_f32_e32 vcc, s4, v0
	v_cndmask_b32_e32 v0, v0, v2, vcc
	v_sqrt_f32_e32 v2, v0
	v_mul_f32_e32 v1, v7, v1
	v_fma_f32 v1, v8, v3, -v1
	v_mul_f32_e32 v1, 0x3f4c422a, v1
	v_add_u32_e32 v3, -1, v2
	v_fma_f32 v4, -v3, v2, v0
	v_cmp_ge_f32_e64 s[4:5], 0, v4
	v_add_u32_e32 v4, 1, v2
	v_cndmask_b32_e64 v3, v2, v3, s[4:5]
	v_fma_f32 v2, -v4, v2, v0
	v_cmp_lt_f32_e64 s[4:5], 0, v2
	v_cndmask_b32_e64 v2, v3, v4, s[4:5]
	v_mul_f32_e32 v3, 0x37800000, v2
	v_cndmask_b32_e32 v2, v2, v3, vcc
	v_mov_b32_e32 v3, 0x260
	v_cmp_class_f32_e32 vcc, v0, v3
	v_cndmask_b32_e32 v0, v2, v0, vcc
	v_div_scale_f32 v2, s[4:5], v0, v0, v1
	v_div_scale_f32 v3, vcc, v1, v0, v1
	v_rcp_f32_e32 v4, v2
	v_fma_f32 v5, -v2, v4, 1.0
	v_fmac_f32_e32 v4, v5, v4
	v_mul_f32_e32 v5, v3, v4
	v_fma_f32 v6, -v2, v5, v3
	v_fmac_f32_e32 v5, v6, v4
	v_fma_f32 v2, -v2, v5, v3
	v_div_fmas_f32 v2, v2, v4, v5
	v_div_fixup_f32 v1, v2, v0, v1
.LBB9_23:
	s_or_b64 exec, exec, s[12:13]
                                        ; implicit-def: $vgpr0
	s_andn2_saveexec_b64 s[10:11], s[10:11]
	s_cbranch_execnz .LBB9_7
.LBB9_24:
	s_or_b64 exec, exec, s[10:11]
	v_mov_b32_e32 v0, v1
	s_setpc_b64 s[30:31]
.LBB9_25:
	s_andn2_saveexec_b64 s[4:5], s[14:15]
	s_cbranch_execz .LBB9_27
.LBB9_26:
	s_mov_b32 s6, 0x3f22f983
	v_mul_f32_e64 v5, |v1|, s6
	v_rndne_f32_e32 v7, v5
	s_mov_b32 s6, 0xbfc90fda
	v_cvt_i32_f32_e32 v5, v7
	v_fma_f32 v6, v7, s6, |v1|
	v_fmac_f32_e32 v6, 0xb3a22168, v7
	v_fmac_f32_e32 v6, 0xa7c234c4, v7
.LBB9_27:
	s_or_b64 exec, exec, s[4:5]
	s_mov_b32 s6, 0xc0a00000
	v_div_scale_f32 v7, s[4:5], v0, v0, s6
	v_div_scale_f32 v8, vcc, s6, v0, s6
	v_mov_b32_e32 v14, 0x3a15c4d9
	v_mov_b32_e32 v15, 0x3d8cfeeb
	;; [unrolled: 1-line block ×8, first 2 shown]
	v_rcp_f32_e32 v9, v7
	v_fma_f32 v10, -v7, v9, 1.0
	v_fmac_f32_e32 v9, v10, v9
	v_mul_f32_e32 v10, v8, v9
	v_fma_f32 v11, -v7, v10, v8
	v_fmac_f32_e32 v10, v11, v9
	v_fma_f32 v7, -v7, v10, v8
	v_div_fmas_f32 v7, v7, v9, v10
	v_mov_b32_e32 v8, 0x3a47c962
	v_mov_b32_e32 v9, 0x3d95ca45
	;; [unrolled: 1-line block ×4, first 2 shown]
	v_div_fixup_f32 v7, v7, v0, s6
	v_mul_f32_e32 v7, v7, v7
	v_fmac_f32_e32 v8, 0, v7
	v_fmac_f32_e32 v14, 0, v7
	;; [unrolled: 1-line block ×12, first 2 shown]
	v_fma_f32 v8, v7, v19, 1.0
	v_fma_f32 v9, v7, v13, 1.0
	v_div_scale_f32 v10, s[4:5], v8, v8, v9
	v_div_scale_f32 v11, vcc, v9, v8, v9
	v_mov_b32_e32 v12, 0x3d513fd3
	v_mov_b32_e32 v13, 0x409f6dae
	v_fmac_f32_e32 v12, 0, v7
	v_mov_b32_e32 v15, 0x4297a5cd
	v_fmac_f32_e32 v13, v7, v12
	;; [unrolled: 2-line block ×4, first 2 shown]
	s_mov_b32 s6, 0x40a00000
	v_fmac_f32_e32 v17, v7, v16
	v_div_scale_f32 v16, s[4:5], v0, v0, s6
	v_rcp_f32_e32 v14, v10
	v_mov_b32_e32 v12, 0x44840e5d
	v_mov_b32_e32 v13, 0x46156947
	;; [unrolled: 1-line block ×3, first 2 shown]
	v_fma_f32 v18, -v10, v14, 1.0
	v_fmac_f32_e32 v14, v18, v14
	v_mul_f32_e32 v18, v11, v14
	v_fma_f32 v19, -v10, v18, v11
	v_fmac_f32_e32 v18, v19, v14
	v_fma_f32 v10, -v10, v18, v11
	v_div_fmas_f32 v10, v10, v14, v18
	v_mov_b32_e32 v18, 0x42947983
	v_fmac_f32_e32 v18, 0, v7
	v_fmac_f32_e32 v12, v7, v18
	v_mov_b32_e32 v18, 0x459bd349
	v_fmac_f32_e32 v18, v7, v12
	v_mov_b32_e32 v12, 0x45f9e855
	;; [unrolled: 2-line block ×4, first 2 shown]
	v_fmac_f32_e32 v19, v7, v17
	v_fmac_f32_e32 v15, v7, v12
	v_div_scale_f32 v12, vcc, s6, v0, s6
	v_mov_b32_e32 v14, 0x41c9a7fa
	v_mov_b32_e32 v18, 0x43a80bfb
	v_fmac_f32_e32 v11, v7, v19
	v_fmac_f32_e32 v18, v7, v15
	;; [unrolled: 1-line block ×3, first 2 shown]
	v_div_scale_f32 v7, s[4:5], v18, v18, v14
	v_div_scale_f32 v15, s[4:5], v14, v18, v14
	v_mul_f32_e32 v13, v4, v4
	v_div_fixup_f32 v8, v10, v8, v9
	v_mov_b32_e32 v9, 0x3c0881c4
	v_rcp_f32_e32 v11, v16
	v_fmac_f32_e32 v9, 0xb94c1982, v13
	v_mov_b32_e32 v10, 0xbe2aaa9d
	v_fma_f32 v9, v13, v9, v10
	v_mul_f32_e32 v9, v13, v9
	v_fmac_f32_e32 v4, v4, v9
	v_fma_f32 v9, -v16, v11, 1.0
	v_fmac_f32_e32 v11, v9, v11
	v_mul_f32_e32 v9, v12, v11
	v_fma_f32 v19, -v16, v9, v12
	v_fmac_f32_e32 v9, v19, v11
	v_fma_f32 v12, -v16, v9, v12
	v_rcp_f32_e32 v16, v7
	v_div_fmas_f32 v9, v12, v11, v9
	s_mov_b64 vcc, s[4:5]
	v_mov_b32_e32 v17, 0x3c0881c4
	v_fma_f32 v11, -v7, v16, 1.0
	v_fmac_f32_e32 v16, v11, v16
	v_mul_f32_e32 v11, v15, v16
	v_fma_f32 v12, -v7, v11, v15
	v_fmac_f32_e32 v11, v12, v16
	v_fma_f32 v7, -v7, v11, v15
	v_div_fmas_f32 v7, v7, v16, v11
	v_mov_b32_e32 v12, 0xbab64f3b
	v_fmac_f32_e32 v12, 0x37d75334, v13
	v_mov_b32_e32 v15, 0x3d2aabf7
	v_mov_b32_e32 v19, 0xbab64f3b
	v_fma_f32 v11, v13, v12, v15
	v_mov_b32_e32 v12, 0xbf000004
	v_div_fixup_f32 v9, v9, v0, s6
	v_fma_f32 v11, v13, v11, v12
	v_fma_f32 v11, v13, v11, 1.0
	v_and_b32_e32 v13, 1, v3
	v_cmp_eq_u32_e32 vcc, 0, v13
	s_movk_i32 s4, 0x1f8
	v_cndmask_b32_e64 v4, -v4, v11, vcc
	v_lshlrev_b32_e32 v3, 30, v3
	v_cmp_class_f32_e64 vcc, v1, s4
	v_div_fixup_f32 v7, v7, v18, v14
	v_mul_f32_e32 v7, v9, v7
	v_mul_f32_e32 v9, v6, v6
	v_fmac_f32_e32 v17, 0xb94c1982, v9
	v_fmac_f32_e32 v10, v9, v17
	;; [unrolled: 1-line block ×3, first 2 shown]
	v_mul_f32_e32 v10, v9, v10
	v_fmac_f32_e32 v15, v9, v19
	v_fmac_f32_e32 v6, v6, v10
	;; [unrolled: 1-line block ×3, first 2 shown]
	v_and_b32_e32 v10, 1, v5
	v_lshlrev_b32_e32 v5, 30, v5
	v_fma_f32 v9, v9, v12, 1.0
	v_cmp_eq_u32_e64 s[4:5], 0, v10
	v_and_b32_e32 v5, 0x80000000, v5
	v_xor_b32_e32 v1, v2, v1
	v_and_b32_e32 v3, 0x80000000, v3
	v_cndmask_b32_e64 v6, v9, v6, s[4:5]
	v_xor_b32_e32 v1, v1, v5
	v_xor_b32_e32 v3, v3, v4
	v_mov_b32_e32 v4, 0x7fc00000
	v_xor_b32_e32 v1, v1, v6
	s_mov_b32 s4, 0x8f800000
	v_cndmask_b32_e32 v3, v4, v3, vcc
	v_cndmask_b32_e32 v1, v4, v1, vcc
	v_mul_f32_e32 v2, 0xcf800000, v0
	v_cmp_lt_f32_e32 vcc, s4, v0
	v_cndmask_b32_e64 v0, -v0, v2, vcc
	v_sqrt_f32_e32 v2, v0
	v_mul_f32_e32 v1, v7, v1
	v_fmac_f32_e32 v1, v8, v3
	v_mul_f32_e32 v1, 0x3f4c422a, v1
	v_add_u32_e32 v3, -1, v2
	v_fma_f32 v4, -v3, v2, v0
	v_cmp_ge_f32_e64 s[4:5], 0, v4
	v_add_u32_e32 v4, 1, v2
	v_cndmask_b32_e64 v3, v2, v3, s[4:5]
	v_fma_f32 v2, -v4, v2, v0
	v_cmp_lt_f32_e64 s[4:5], 0, v2
	v_cndmask_b32_e64 v2, v3, v4, s[4:5]
	v_mul_f32_e32 v3, 0x37800000, v2
	v_cndmask_b32_e32 v2, v2, v3, vcc
	v_mov_b32_e32 v3, 0x260
	v_cmp_class_f32_e32 vcc, v0, v3
	v_cndmask_b32_e32 v0, v2, v0, vcc
	v_div_scale_f32 v2, s[4:5], v0, v0, v1
	v_div_scale_f32 v3, vcc, v1, v0, v1
	v_rcp_f32_e32 v4, v2
	v_fma_f32 v5, -v2, v4, 1.0
	v_fmac_f32_e32 v4, v5, v4
	v_mul_f32_e32 v5, v3, v4
	v_fma_f32 v6, -v2, v5, v3
	v_fmac_f32_e32 v5, v6, v4
	v_fma_f32 v2, -v2, v5, v3
	v_div_fmas_f32 v2, v2, v4, v5
	v_div_fixup_f32 v1, v2, v0, v1
.LBB9_28:
	s_or_b64 exec, exec, s[12:13]
	v_xor_b32_e32 v1, 0x80000000, v1
	s_or_b64 exec, exec, s[10:11]
	v_mov_b32_e32 v0, v1
	s_setpc_b64 s[30:31]
.Lfunc_end9:
	.size	_ZN3c104guts5applyIRZZZN2at6native12_GLOBAL__N_121bessel_j1_kernel_cudaERNS2_18TensorIteratorBaseEENKUlvE_clEvENKUlvE0_clEvEUlfE_RSt5tupleIJfEEEEDaOT_OT0_, .Lfunc_end9-_ZN3c104guts5applyIRZZZN2at6native12_GLOBAL__N_121bessel_j1_kernel_cudaERNS2_18TensorIteratorBaseEENKUlvE_clEvENKUlvE0_clEvEUlfE_RSt5tupleIJfEEEEDaOT_OT0_
                                        ; -- End function
	.set .L_ZN3c104guts5applyIRZZZN2at6native12_GLOBAL__N_121bessel_j1_kernel_cudaERNS2_18TensorIteratorBaseEENKUlvE_clEvENKUlvE0_clEvEUlfE_RSt5tupleIJfEEEEDaOT_OT0_.num_vgpr, 20
	.set .L_ZN3c104guts5applyIRZZZN2at6native12_GLOBAL__N_121bessel_j1_kernel_cudaERNS2_18TensorIteratorBaseEENKUlvE_clEvENKUlvE0_clEvEUlfE_RSt5tupleIJfEEEEDaOT_OT0_.num_agpr, 0
	.set .L_ZN3c104guts5applyIRZZZN2at6native12_GLOBAL__N_121bessel_j1_kernel_cudaERNS2_18TensorIteratorBaseEENKUlvE_clEvENKUlvE0_clEvEUlfE_RSt5tupleIJfEEEEDaOT_OT0_.numbered_sgpr, 32
	.set .L_ZN3c104guts5applyIRZZZN2at6native12_GLOBAL__N_121bessel_j1_kernel_cudaERNS2_18TensorIteratorBaseEENKUlvE_clEvENKUlvE0_clEvEUlfE_RSt5tupleIJfEEEEDaOT_OT0_.num_named_barrier, 0
	.set .L_ZN3c104guts5applyIRZZZN2at6native12_GLOBAL__N_121bessel_j1_kernel_cudaERNS2_18TensorIteratorBaseEENKUlvE_clEvENKUlvE0_clEvEUlfE_RSt5tupleIJfEEEEDaOT_OT0_.private_seg_size, 0
	.set .L_ZN3c104guts5applyIRZZZN2at6native12_GLOBAL__N_121bessel_j1_kernel_cudaERNS2_18TensorIteratorBaseEENKUlvE_clEvENKUlvE0_clEvEUlfE_RSt5tupleIJfEEEEDaOT_OT0_.uses_vcc, 1
	.set .L_ZN3c104guts5applyIRZZZN2at6native12_GLOBAL__N_121bessel_j1_kernel_cudaERNS2_18TensorIteratorBaseEENKUlvE_clEvENKUlvE0_clEvEUlfE_RSt5tupleIJfEEEEDaOT_OT0_.uses_flat_scratch, 0
	.set .L_ZN3c104guts5applyIRZZZN2at6native12_GLOBAL__N_121bessel_j1_kernel_cudaERNS2_18TensorIteratorBaseEENKUlvE_clEvENKUlvE0_clEvEUlfE_RSt5tupleIJfEEEEDaOT_OT0_.has_dyn_sized_stack, 0
	.set .L_ZN3c104guts5applyIRZZZN2at6native12_GLOBAL__N_121bessel_j1_kernel_cudaERNS2_18TensorIteratorBaseEENKUlvE_clEvENKUlvE0_clEvEUlfE_RSt5tupleIJfEEEEDaOT_OT0_.has_recursion, 0
	.set .L_ZN3c104guts5applyIRZZZN2at6native12_GLOBAL__N_121bessel_j1_kernel_cudaERNS2_18TensorIteratorBaseEENKUlvE_clEvENKUlvE0_clEvEUlfE_RSt5tupleIJfEEEEDaOT_OT0_.has_indirect_call, 0
	.section	.AMDGPU.csdata,"",@progbits
; Function info:
; codeLenInByte = 5612
; TotalNumSgprs: 36
; NumVgprs: 20
; ScratchSize: 0
; MemoryBound: 0
	.section	.text._ZN2at6native29vectorized_elementwise_kernelILi16EZZZNS0_12_GLOBAL__N_121bessel_j1_kernel_cudaERNS_18TensorIteratorBaseEENKUlvE_clEvENKUlvE0_clEvEUlfE_St5arrayIPcLm2EEEEviT0_T1_,"axG",@progbits,_ZN2at6native29vectorized_elementwise_kernelILi16EZZZNS0_12_GLOBAL__N_121bessel_j1_kernel_cudaERNS_18TensorIteratorBaseEENKUlvE_clEvENKUlvE0_clEvEUlfE_St5arrayIPcLm2EEEEviT0_T1_,comdat
	.globl	_ZN2at6native29vectorized_elementwise_kernelILi16EZZZNS0_12_GLOBAL__N_121bessel_j1_kernel_cudaERNS_18TensorIteratorBaseEENKUlvE_clEvENKUlvE0_clEvEUlfE_St5arrayIPcLm2EEEEviT0_T1_ ; -- Begin function _ZN2at6native29vectorized_elementwise_kernelILi16EZZZNS0_12_GLOBAL__N_121bessel_j1_kernel_cudaERNS_18TensorIteratorBaseEENKUlvE_clEvENKUlvE0_clEvEUlfE_St5arrayIPcLm2EEEEviT0_T1_
	.p2align	8
	.type	_ZN2at6native29vectorized_elementwise_kernelILi16EZZZNS0_12_GLOBAL__N_121bessel_j1_kernel_cudaERNS_18TensorIteratorBaseEENKUlvE_clEvENKUlvE0_clEvEUlfE_St5arrayIPcLm2EEEEviT0_T1_,@function
_ZN2at6native29vectorized_elementwise_kernelILi16EZZZNS0_12_GLOBAL__N_121bessel_j1_kernel_cudaERNS_18TensorIteratorBaseEENKUlvE_clEvENKUlvE0_clEvEUlfE_St5arrayIPcLm2EEEEviT0_T1_: ; @_ZN2at6native29vectorized_elementwise_kernelILi16EZZZNS0_12_GLOBAL__N_121bessel_j1_kernel_cudaERNS_18TensorIteratorBaseEENKUlvE_clEvENKUlvE0_clEvEUlfE_St5arrayIPcLm2EEEEviT0_T1_
; %bb.0:
	s_add_u32 s0, s0, s7
	s_load_dword s7, s[4:5], 0x0
	s_load_dwordx4 s[20:23], s[4:5], 0x8
	s_addc_u32 s1, s1, 0
	s_lshl_b32 s24, s6, 10
	v_mov_b32_e32 v20, v0
	s_waitcnt lgkmcnt(0)
	s_sub_i32 s26, s7, s24
	s_cmpk_gt_i32 s26, 0x3ff
	s_mov_b64 s[4:5], -1
	s_mov_b32 s32, 0
	s_cbranch_scc0 .LBB10_2
; %bb.1:
	s_ashr_i32 s25, s24, 31
	s_lshl_b64 s[18:19], s[24:25], 2
	s_add_u32 s4, s22, s18
	s_addc_u32 s5, s23, s19
	v_lshlrev_b32_e32 v25, 4, v20
	global_load_dwordx4 v[21:24], v25, s[4:5]
	s_getpc_b64 s[28:29]
	s_add_u32 s28, s28, _ZN3c104guts5applyIRZZZN2at6native12_GLOBAL__N_121bessel_j1_kernel_cudaERNS2_18TensorIteratorBaseEENKUlvE_clEvENKUlvE0_clEvEUlfE_RSt5tupleIJfEEEEDaOT_OT0_@rel32@lo+4
	s_addc_u32 s29, s29, _ZN3c104guts5applyIRZZZN2at6native12_GLOBAL__N_121bessel_j1_kernel_cudaERNS2_18TensorIteratorBaseEENKUlvE_clEvENKUlvE0_clEvEUlfE_RSt5tupleIJfEEEEDaOT_OT0_@rel32@hi+12
	s_waitcnt vmcnt(0)
	v_mov_b32_e32 v0, v21
	s_swappc_b64 s[30:31], s[28:29]
	v_mov_b32_e32 v21, v0
	v_mov_b32_e32 v0, v22
	s_swappc_b64 s[30:31], s[28:29]
	v_mov_b32_e32 v22, v0
	;; [unrolled: 3-line block ×3, first 2 shown]
	v_mov_b32_e32 v0, v24
	s_swappc_b64 s[30:31], s[28:29]
	s_add_u32 s4, s20, s18
	v_mov_b32_e32 v24, v0
	s_addc_u32 s5, s21, s19
	global_store_dwordx4 v25, v[21:24], s[4:5]
	s_mov_b64 s[4:5], 0
.LBB10_2:
	s_andn2_b64 vcc, exec, s[4:5]
	s_cbranch_vccnz .LBB10_23
; %bb.3:
	v_cmp_gt_i32_e64 s[18:19], s26, v20
	v_mov_b32_e32 v21, 0
	v_or_b32_e32 v28, s24, v20
	v_mov_b32_e32 v0, 0
	v_mov_b32_e32 v1, v20
	s_and_saveexec_b64 s[4:5], s[18:19]
	s_cbranch_execz .LBB10_5
; %bb.4:
	v_mov_b32_e32 v29, 0
	v_lshlrev_b64 v[0:1], 2, v[28:29]
	v_mov_b32_e32 v2, s23
	v_add_co_u32_e32 v0, vcc, s22, v0
	v_addc_co_u32_e32 v1, vcc, v2, v1, vcc
	global_load_dword v0, v[0:1], off
	v_or_b32_e32 v1, 0x100, v20
.LBB10_5:
	s_or_b64 exec, exec, s[4:5]
	v_cmp_gt_i32_e32 vcc, s26, v1
	s_and_saveexec_b64 s[4:5], vcc
	s_cbranch_execz .LBB10_7
; %bb.6:
	v_add_u32_e32 v2, s24, v1
	v_mov_b32_e32 v3, 0
	v_lshlrev_b64 v[2:3], 2, v[2:3]
	v_mov_b32_e32 v4, s23
	v_add_co_u32_e32 v2, vcc, s22, v2
	v_addc_co_u32_e32 v3, vcc, v4, v3, vcc
	global_load_dword v21, v[2:3], off
	v_add_u32_e32 v1, 0x100, v1
.LBB10_7:
	s_or_b64 exec, exec, s[4:5]
	v_cmp_gt_i32_e32 vcc, s26, v1
	v_mov_b32_e32 v22, 0
	v_mov_b32_e32 v23, 0
	s_and_saveexec_b64 s[4:5], vcc
	s_cbranch_execz .LBB10_9
; %bb.8:
	v_add_u32_e32 v2, s24, v1
	v_mov_b32_e32 v3, 0
	v_lshlrev_b64 v[2:3], 2, v[2:3]
	v_mov_b32_e32 v4, s23
	v_add_co_u32_e32 v2, vcc, s22, v2
	v_addc_co_u32_e32 v3, vcc, v4, v3, vcc
	global_load_dword v23, v[2:3], off
	v_add_u32_e32 v1, 0x100, v1
.LBB10_9:
	s_or_b64 exec, exec, s[4:5]
	v_cmp_gt_i32_e32 vcc, s26, v1
	s_and_saveexec_b64 s[4:5], vcc
	s_cbranch_execz .LBB10_11
; %bb.10:
	v_add_u32_e32 v1, s24, v1
	v_mov_b32_e32 v2, 0
	v_lshlrev_b64 v[1:2], 2, v[1:2]
	v_mov_b32_e32 v3, s23
	v_add_co_u32_e32 v1, vcc, s22, v1
	v_addc_co_u32_e32 v2, vcc, v3, v2, vcc
	global_load_dword v22, v[1:2], off
.LBB10_11:
	s_or_b64 exec, exec, s[4:5]
	v_mov_b32_e32 v24, 0
	v_mov_b32_e32 v25, v24
	;; [unrolled: 1-line block ×4, first 2 shown]
	s_and_saveexec_b64 s[22:23], s[18:19]
	s_cbranch_execz .LBB10_13
; %bb.12:
	s_getpc_b64 s[4:5]
	s_add_u32 s4, s4, _ZN3c104guts5applyIRZZZN2at6native12_GLOBAL__N_121bessel_j1_kernel_cudaERNS2_18TensorIteratorBaseEENKUlvE_clEvENKUlvE0_clEvEUlfE_RSt5tupleIJfEEEEDaOT_OT0_@rel32@lo+4
	s_addc_u32 s5, s5, _ZN3c104guts5applyIRZZZN2at6native12_GLOBAL__N_121bessel_j1_kernel_cudaERNS2_18TensorIteratorBaseEENKUlvE_clEvENKUlvE0_clEvEUlfE_RSt5tupleIJfEEEEDaOT_OT0_@rel32@hi+12
	s_swappc_b64 s[30:31], s[4:5]
	v_mov_b32_e32 v3, v24
	v_mov_b32_e32 v1, v24
	;; [unrolled: 1-line block ×7, first 2 shown]
.LBB10_13:
	s_or_b64 exec, exec, s[22:23]
	v_or_b32_e32 v30, 0x100, v20
	v_cmp_gt_i32_e32 vcc, s26, v30
	s_and_saveexec_b64 s[22:23], vcc
	s_cbranch_execz .LBB10_15
; %bb.14:
	s_getpc_b64 s[4:5]
	s_add_u32 s4, s4, _ZN3c104guts5applyIRZZZN2at6native12_GLOBAL__N_121bessel_j1_kernel_cudaERNS2_18TensorIteratorBaseEENKUlvE_clEvENKUlvE0_clEvEUlfE_RSt5tupleIJfEEEEDaOT_OT0_@rel32@lo+4
	s_addc_u32 s5, s5, _ZN3c104guts5applyIRZZZN2at6native12_GLOBAL__N_121bessel_j1_kernel_cudaERNS2_18TensorIteratorBaseEENKUlvE_clEvENKUlvE0_clEvEUlfE_RSt5tupleIJfEEEEDaOT_OT0_@rel32@hi+12
	s_waitcnt vmcnt(0)
	v_mov_b32_e32 v0, v21
	s_swappc_b64 s[30:31], s[4:5]
	v_mov_b32_e32 v25, v0
.LBB10_15:
	s_or_b64 exec, exec, s[22:23]
	s_waitcnt vmcnt(0)
	v_or_b32_e32 v0, 0x200, v20
	v_cmp_gt_i32_e32 vcc, s26, v0
	s_and_saveexec_b64 s[22:23], vcc
	s_cbranch_execz .LBB10_17
; %bb.16:
	s_getpc_b64 s[4:5]
	s_add_u32 s4, s4, _ZN3c104guts5applyIRZZZN2at6native12_GLOBAL__N_121bessel_j1_kernel_cudaERNS2_18TensorIteratorBaseEENKUlvE_clEvENKUlvE0_clEvEUlfE_RSt5tupleIJfEEEEDaOT_OT0_@rel32@lo+4
	s_addc_u32 s5, s5, _ZN3c104guts5applyIRZZZN2at6native12_GLOBAL__N_121bessel_j1_kernel_cudaERNS2_18TensorIteratorBaseEENKUlvE_clEvENKUlvE0_clEvEUlfE_RSt5tupleIJfEEEEDaOT_OT0_@rel32@hi+12
	v_mov_b32_e32 v0, v23
	s_swappc_b64 s[30:31], s[4:5]
	v_mov_b32_e32 v26, v0
.LBB10_17:
	s_or_b64 exec, exec, s[22:23]
	v_or_b32_e32 v0, 0x300, v20
	v_cmp_gt_i32_e32 vcc, s26, v0
	s_and_saveexec_b64 s[22:23], vcc
	s_cbranch_execnz .LBB10_24
; %bb.18:
	s_or_b64 exec, exec, s[22:23]
	s_and_saveexec_b64 s[4:5], s[18:19]
	s_xor_b64 s[4:5], exec, s[4:5]
	s_cbranch_execnz .LBB10_25
.LBB10_19:
	s_or_b64 exec, exec, s[4:5]
	v_cmp_gt_i32_e32 vcc, s26, v20
	s_and_saveexec_b64 s[4:5], vcc
	s_cbranch_execnz .LBB10_26
.LBB10_20:
	s_or_b64 exec, exec, s[4:5]
	v_cmp_gt_i32_e32 vcc, s26, v20
	s_and_saveexec_b64 s[4:5], vcc
	s_cbranch_execnz .LBB10_27
.LBB10_21:
	s_or_b64 exec, exec, s[4:5]
	v_cmp_gt_i32_e32 vcc, s26, v20
	s_and_saveexec_b64 s[4:5], vcc
	s_cbranch_execz .LBB10_23
.LBB10_22:
	v_add_u32_e32 v0, s24, v20
	v_mov_b32_e32 v1, 0
	v_lshlrev_b64 v[0:1], 2, v[0:1]
	v_mov_b32_e32 v2, s21
	v_add_co_u32_e32 v0, vcc, s20, v0
	v_addc_co_u32_e32 v1, vcc, v2, v1, vcc
	global_store_dword v[0:1], v27, off
.LBB10_23:
	s_endpgm
.LBB10_24:
	s_getpc_b64 s[4:5]
	s_add_u32 s4, s4, _ZN3c104guts5applyIRZZZN2at6native12_GLOBAL__N_121bessel_j1_kernel_cudaERNS2_18TensorIteratorBaseEENKUlvE_clEvENKUlvE0_clEvEUlfE_RSt5tupleIJfEEEEDaOT_OT0_@rel32@lo+4
	s_addc_u32 s5, s5, _ZN3c104guts5applyIRZZZN2at6native12_GLOBAL__N_121bessel_j1_kernel_cudaERNS2_18TensorIteratorBaseEENKUlvE_clEvENKUlvE0_clEvEUlfE_RSt5tupleIJfEEEEDaOT_OT0_@rel32@hi+12
	v_mov_b32_e32 v0, v22
	s_swappc_b64 s[30:31], s[4:5]
	v_mov_b32_e32 v27, v0
	s_or_b64 exec, exec, s[22:23]
	s_and_saveexec_b64 s[4:5], s[18:19]
	s_xor_b64 s[4:5], exec, s[4:5]
	s_cbranch_execz .LBB10_19
.LBB10_25:
	v_mov_b32_e32 v29, 0
	v_lshlrev_b64 v[0:1], 2, v[28:29]
	v_mov_b32_e32 v2, s21
	v_add_co_u32_e32 v0, vcc, s20, v0
	v_addc_co_u32_e32 v1, vcc, v2, v1, vcc
	v_mov_b32_e32 v20, v30
	global_store_dword v[0:1], v24, off
	s_or_b64 exec, exec, s[4:5]
	v_cmp_gt_i32_e32 vcc, s26, v20
	s_and_saveexec_b64 s[4:5], vcc
	s_cbranch_execz .LBB10_20
.LBB10_26:
	v_add_u32_e32 v0, s24, v20
	v_mov_b32_e32 v1, 0
	v_lshlrev_b64 v[0:1], 2, v[0:1]
	v_mov_b32_e32 v2, s21
	v_add_co_u32_e32 v0, vcc, s20, v0
	v_addc_co_u32_e32 v1, vcc, v2, v1, vcc
	v_add_u32_e32 v20, 0x100, v20
	global_store_dword v[0:1], v25, off
	s_or_b64 exec, exec, s[4:5]
	v_cmp_gt_i32_e32 vcc, s26, v20
	s_and_saveexec_b64 s[4:5], vcc
	s_cbranch_execz .LBB10_21
.LBB10_27:
	v_add_u32_e32 v0, s24, v20
	v_mov_b32_e32 v1, 0
	v_lshlrev_b64 v[0:1], 2, v[0:1]
	v_mov_b32_e32 v2, s21
	v_add_co_u32_e32 v0, vcc, s20, v0
	v_addc_co_u32_e32 v1, vcc, v2, v1, vcc
	v_add_u32_e32 v20, 0x100, v20
	global_store_dword v[0:1], v26, off
	s_or_b64 exec, exec, s[4:5]
	v_cmp_gt_i32_e32 vcc, s26, v20
	s_and_saveexec_b64 s[4:5], vcc
	s_cbranch_execnz .LBB10_22
	s_branch .LBB10_23
	.section	.rodata,"a",@progbits
	.p2align	6, 0x0
	.amdhsa_kernel _ZN2at6native29vectorized_elementwise_kernelILi16EZZZNS0_12_GLOBAL__N_121bessel_j1_kernel_cudaERNS_18TensorIteratorBaseEENKUlvE_clEvENKUlvE0_clEvEUlfE_St5arrayIPcLm2EEEEviT0_T1_
		.amdhsa_group_segment_fixed_size 0
		.amdhsa_private_segment_fixed_size 0
		.amdhsa_kernarg_size 24
		.amdhsa_user_sgpr_count 6
		.amdhsa_user_sgpr_private_segment_buffer 1
		.amdhsa_user_sgpr_dispatch_ptr 0
		.amdhsa_user_sgpr_queue_ptr 0
		.amdhsa_user_sgpr_kernarg_segment_ptr 1
		.amdhsa_user_sgpr_dispatch_id 0
		.amdhsa_user_sgpr_flat_scratch_init 0
		.amdhsa_user_sgpr_private_segment_size 0
		.amdhsa_uses_dynamic_stack 0
		.amdhsa_system_sgpr_private_segment_wavefront_offset 0
		.amdhsa_system_sgpr_workgroup_id_x 1
		.amdhsa_system_sgpr_workgroup_id_y 0
		.amdhsa_system_sgpr_workgroup_id_z 0
		.amdhsa_system_sgpr_workgroup_info 0
		.amdhsa_system_vgpr_workitem_id 0
		.amdhsa_next_free_vgpr 31
		.amdhsa_next_free_sgpr 33
		.amdhsa_reserve_vcc 1
		.amdhsa_reserve_flat_scratch 0
		.amdhsa_float_round_mode_32 0
		.amdhsa_float_round_mode_16_64 0
		.amdhsa_float_denorm_mode_32 3
		.amdhsa_float_denorm_mode_16_64 3
		.amdhsa_dx10_clamp 1
		.amdhsa_ieee_mode 1
		.amdhsa_fp16_overflow 0
		.amdhsa_exception_fp_ieee_invalid_op 0
		.amdhsa_exception_fp_denorm_src 0
		.amdhsa_exception_fp_ieee_div_zero 0
		.amdhsa_exception_fp_ieee_overflow 0
		.amdhsa_exception_fp_ieee_underflow 0
		.amdhsa_exception_fp_ieee_inexact 0
		.amdhsa_exception_int_div_zero 0
	.end_amdhsa_kernel
	.section	.text._ZN2at6native29vectorized_elementwise_kernelILi16EZZZNS0_12_GLOBAL__N_121bessel_j1_kernel_cudaERNS_18TensorIteratorBaseEENKUlvE_clEvENKUlvE0_clEvEUlfE_St5arrayIPcLm2EEEEviT0_T1_,"axG",@progbits,_ZN2at6native29vectorized_elementwise_kernelILi16EZZZNS0_12_GLOBAL__N_121bessel_j1_kernel_cudaERNS_18TensorIteratorBaseEENKUlvE_clEvENKUlvE0_clEvEUlfE_St5arrayIPcLm2EEEEviT0_T1_,comdat
.Lfunc_end10:
	.size	_ZN2at6native29vectorized_elementwise_kernelILi16EZZZNS0_12_GLOBAL__N_121bessel_j1_kernel_cudaERNS_18TensorIteratorBaseEENKUlvE_clEvENKUlvE0_clEvEUlfE_St5arrayIPcLm2EEEEviT0_T1_, .Lfunc_end10-_ZN2at6native29vectorized_elementwise_kernelILi16EZZZNS0_12_GLOBAL__N_121bessel_j1_kernel_cudaERNS_18TensorIteratorBaseEENKUlvE_clEvENKUlvE0_clEvEUlfE_St5arrayIPcLm2EEEEviT0_T1_
                                        ; -- End function
	.set _ZN2at6native29vectorized_elementwise_kernelILi16EZZZNS0_12_GLOBAL__N_121bessel_j1_kernel_cudaERNS_18TensorIteratorBaseEENKUlvE_clEvENKUlvE0_clEvEUlfE_St5arrayIPcLm2EEEEviT0_T1_.num_vgpr, max(31, .L_ZN3c104guts5applyIRZZZN2at6native12_GLOBAL__N_121bessel_j1_kernel_cudaERNS2_18TensorIteratorBaseEENKUlvE_clEvENKUlvE0_clEvEUlfE_RSt5tupleIJfEEEEDaOT_OT0_.num_vgpr)
	.set _ZN2at6native29vectorized_elementwise_kernelILi16EZZZNS0_12_GLOBAL__N_121bessel_j1_kernel_cudaERNS_18TensorIteratorBaseEENKUlvE_clEvENKUlvE0_clEvEUlfE_St5arrayIPcLm2EEEEviT0_T1_.num_agpr, max(0, .L_ZN3c104guts5applyIRZZZN2at6native12_GLOBAL__N_121bessel_j1_kernel_cudaERNS2_18TensorIteratorBaseEENKUlvE_clEvENKUlvE0_clEvEUlfE_RSt5tupleIJfEEEEDaOT_OT0_.num_agpr)
	.set _ZN2at6native29vectorized_elementwise_kernelILi16EZZZNS0_12_GLOBAL__N_121bessel_j1_kernel_cudaERNS_18TensorIteratorBaseEENKUlvE_clEvENKUlvE0_clEvEUlfE_St5arrayIPcLm2EEEEviT0_T1_.numbered_sgpr, max(33, .L_ZN3c104guts5applyIRZZZN2at6native12_GLOBAL__N_121bessel_j1_kernel_cudaERNS2_18TensorIteratorBaseEENKUlvE_clEvENKUlvE0_clEvEUlfE_RSt5tupleIJfEEEEDaOT_OT0_.numbered_sgpr)
	.set _ZN2at6native29vectorized_elementwise_kernelILi16EZZZNS0_12_GLOBAL__N_121bessel_j1_kernel_cudaERNS_18TensorIteratorBaseEENKUlvE_clEvENKUlvE0_clEvEUlfE_St5arrayIPcLm2EEEEviT0_T1_.num_named_barrier, max(0, .L_ZN3c104guts5applyIRZZZN2at6native12_GLOBAL__N_121bessel_j1_kernel_cudaERNS2_18TensorIteratorBaseEENKUlvE_clEvENKUlvE0_clEvEUlfE_RSt5tupleIJfEEEEDaOT_OT0_.num_named_barrier)
	.set _ZN2at6native29vectorized_elementwise_kernelILi16EZZZNS0_12_GLOBAL__N_121bessel_j1_kernel_cudaERNS_18TensorIteratorBaseEENKUlvE_clEvENKUlvE0_clEvEUlfE_St5arrayIPcLm2EEEEviT0_T1_.private_seg_size, 0+max(.L_ZN3c104guts5applyIRZZZN2at6native12_GLOBAL__N_121bessel_j1_kernel_cudaERNS2_18TensorIteratorBaseEENKUlvE_clEvENKUlvE0_clEvEUlfE_RSt5tupleIJfEEEEDaOT_OT0_.private_seg_size)
	.set _ZN2at6native29vectorized_elementwise_kernelILi16EZZZNS0_12_GLOBAL__N_121bessel_j1_kernel_cudaERNS_18TensorIteratorBaseEENKUlvE_clEvENKUlvE0_clEvEUlfE_St5arrayIPcLm2EEEEviT0_T1_.uses_vcc, or(1, .L_ZN3c104guts5applyIRZZZN2at6native12_GLOBAL__N_121bessel_j1_kernel_cudaERNS2_18TensorIteratorBaseEENKUlvE_clEvENKUlvE0_clEvEUlfE_RSt5tupleIJfEEEEDaOT_OT0_.uses_vcc)
	.set _ZN2at6native29vectorized_elementwise_kernelILi16EZZZNS0_12_GLOBAL__N_121bessel_j1_kernel_cudaERNS_18TensorIteratorBaseEENKUlvE_clEvENKUlvE0_clEvEUlfE_St5arrayIPcLm2EEEEviT0_T1_.uses_flat_scratch, or(0, .L_ZN3c104guts5applyIRZZZN2at6native12_GLOBAL__N_121bessel_j1_kernel_cudaERNS2_18TensorIteratorBaseEENKUlvE_clEvENKUlvE0_clEvEUlfE_RSt5tupleIJfEEEEDaOT_OT0_.uses_flat_scratch)
	.set _ZN2at6native29vectorized_elementwise_kernelILi16EZZZNS0_12_GLOBAL__N_121bessel_j1_kernel_cudaERNS_18TensorIteratorBaseEENKUlvE_clEvENKUlvE0_clEvEUlfE_St5arrayIPcLm2EEEEviT0_T1_.has_dyn_sized_stack, or(0, .L_ZN3c104guts5applyIRZZZN2at6native12_GLOBAL__N_121bessel_j1_kernel_cudaERNS2_18TensorIteratorBaseEENKUlvE_clEvENKUlvE0_clEvEUlfE_RSt5tupleIJfEEEEDaOT_OT0_.has_dyn_sized_stack)
	.set _ZN2at6native29vectorized_elementwise_kernelILi16EZZZNS0_12_GLOBAL__N_121bessel_j1_kernel_cudaERNS_18TensorIteratorBaseEENKUlvE_clEvENKUlvE0_clEvEUlfE_St5arrayIPcLm2EEEEviT0_T1_.has_recursion, or(0, .L_ZN3c104guts5applyIRZZZN2at6native12_GLOBAL__N_121bessel_j1_kernel_cudaERNS2_18TensorIteratorBaseEENKUlvE_clEvENKUlvE0_clEvEUlfE_RSt5tupleIJfEEEEDaOT_OT0_.has_recursion)
	.set _ZN2at6native29vectorized_elementwise_kernelILi16EZZZNS0_12_GLOBAL__N_121bessel_j1_kernel_cudaERNS_18TensorIteratorBaseEENKUlvE_clEvENKUlvE0_clEvEUlfE_St5arrayIPcLm2EEEEviT0_T1_.has_indirect_call, or(0, .L_ZN3c104guts5applyIRZZZN2at6native12_GLOBAL__N_121bessel_j1_kernel_cudaERNS2_18TensorIteratorBaseEENKUlvE_clEvENKUlvE0_clEvEUlfE_RSt5tupleIJfEEEEDaOT_OT0_.has_indirect_call)
	.section	.AMDGPU.csdata,"",@progbits
; Kernel info:
; codeLenInByte = 988
; TotalNumSgprs: 37
; NumVgprs: 31
; ScratchSize: 0
; MemoryBound: 0
; FloatMode: 240
; IeeeMode: 1
; LDSByteSize: 0 bytes/workgroup (compile time only)
; SGPRBlocks: 4
; VGPRBlocks: 7
; NumSGPRsForWavesPerEU: 37
; NumVGPRsForWavesPerEU: 31
; Occupancy: 8
; WaveLimiterHint : 0
; COMPUTE_PGM_RSRC2:SCRATCH_EN: 0
; COMPUTE_PGM_RSRC2:USER_SGPR: 6
; COMPUTE_PGM_RSRC2:TRAP_HANDLER: 0
; COMPUTE_PGM_RSRC2:TGID_X_EN: 1
; COMPUTE_PGM_RSRC2:TGID_Y_EN: 0
; COMPUTE_PGM_RSRC2:TGID_Z_EN: 0
; COMPUTE_PGM_RSRC2:TIDIG_COMP_CNT: 0
	.section	.text._ZN2at6native29vectorized_elementwise_kernelILi8EZZZNS0_12_GLOBAL__N_121bessel_j1_kernel_cudaERNS_18TensorIteratorBaseEENKUlvE_clEvENKUlvE0_clEvEUlfE_St5arrayIPcLm2EEEEviT0_T1_,"axG",@progbits,_ZN2at6native29vectorized_elementwise_kernelILi8EZZZNS0_12_GLOBAL__N_121bessel_j1_kernel_cudaERNS_18TensorIteratorBaseEENKUlvE_clEvENKUlvE0_clEvEUlfE_St5arrayIPcLm2EEEEviT0_T1_,comdat
	.globl	_ZN2at6native29vectorized_elementwise_kernelILi8EZZZNS0_12_GLOBAL__N_121bessel_j1_kernel_cudaERNS_18TensorIteratorBaseEENKUlvE_clEvENKUlvE0_clEvEUlfE_St5arrayIPcLm2EEEEviT0_T1_ ; -- Begin function _ZN2at6native29vectorized_elementwise_kernelILi8EZZZNS0_12_GLOBAL__N_121bessel_j1_kernel_cudaERNS_18TensorIteratorBaseEENKUlvE_clEvENKUlvE0_clEvEUlfE_St5arrayIPcLm2EEEEviT0_T1_
	.p2align	8
	.type	_ZN2at6native29vectorized_elementwise_kernelILi8EZZZNS0_12_GLOBAL__N_121bessel_j1_kernel_cudaERNS_18TensorIteratorBaseEENKUlvE_clEvENKUlvE0_clEvEUlfE_St5arrayIPcLm2EEEEviT0_T1_,@function
_ZN2at6native29vectorized_elementwise_kernelILi8EZZZNS0_12_GLOBAL__N_121bessel_j1_kernel_cudaERNS_18TensorIteratorBaseEENKUlvE_clEvENKUlvE0_clEvEUlfE_St5arrayIPcLm2EEEEviT0_T1_: ; @_ZN2at6native29vectorized_elementwise_kernelILi8EZZZNS0_12_GLOBAL__N_121bessel_j1_kernel_cudaERNS_18TensorIteratorBaseEENKUlvE_clEvENKUlvE0_clEvEUlfE_St5arrayIPcLm2EEEEviT0_T1_
; %bb.0:
	s_add_u32 s0, s0, s7
	s_load_dword s7, s[4:5], 0x0
	s_load_dwordx4 s[20:23], s[4:5], 0x8
	s_addc_u32 s1, s1, 0
	s_lshl_b32 s24, s6, 10
	v_mov_b32_e32 v20, v0
	s_waitcnt lgkmcnt(0)
	s_sub_i32 s26, s7, s24
	s_cmpk_gt_i32 s26, 0x3ff
	s_mov_b64 s[4:5], -1
	s_mov_b32 s32, 0
	s_cbranch_scc0 .LBB11_2
; %bb.1:
	s_ashr_i32 s25, s24, 31
	s_lshl_b64 s[18:19], s[24:25], 2
	s_add_u32 s4, s22, s18
	s_addc_u32 s5, s23, s19
	v_lshlrev_b32_e32 v25, 4, v20
	global_load_dwordx4 v[21:24], v25, s[4:5]
	s_getpc_b64 s[28:29]
	s_add_u32 s28, s28, _ZN3c104guts5applyIRZZZN2at6native12_GLOBAL__N_121bessel_j1_kernel_cudaERNS2_18TensorIteratorBaseEENKUlvE_clEvENKUlvE0_clEvEUlfE_RSt5tupleIJfEEEEDaOT_OT0_@rel32@lo+4
	s_addc_u32 s29, s29, _ZN3c104guts5applyIRZZZN2at6native12_GLOBAL__N_121bessel_j1_kernel_cudaERNS2_18TensorIteratorBaseEENKUlvE_clEvENKUlvE0_clEvEUlfE_RSt5tupleIJfEEEEDaOT_OT0_@rel32@hi+12
	s_waitcnt vmcnt(0)
	v_mov_b32_e32 v0, v21
	s_swappc_b64 s[30:31], s[28:29]
	v_mov_b32_e32 v21, v0
	v_mov_b32_e32 v0, v22
	s_swappc_b64 s[30:31], s[28:29]
	v_mov_b32_e32 v22, v0
	;; [unrolled: 3-line block ×3, first 2 shown]
	v_mov_b32_e32 v0, v24
	s_swappc_b64 s[30:31], s[28:29]
	s_add_u32 s4, s20, s18
	v_mov_b32_e32 v24, v0
	s_addc_u32 s5, s21, s19
	global_store_dwordx4 v25, v[21:24], s[4:5]
	s_mov_b64 s[4:5], 0
.LBB11_2:
	s_andn2_b64 vcc, exec, s[4:5]
	s_cbranch_vccnz .LBB11_23
; %bb.3:
	v_cmp_gt_i32_e64 s[18:19], s26, v20
	v_mov_b32_e32 v21, 0
	v_or_b32_e32 v28, s24, v20
	v_mov_b32_e32 v0, 0
	v_mov_b32_e32 v1, v20
	s_and_saveexec_b64 s[4:5], s[18:19]
	s_cbranch_execz .LBB11_5
; %bb.4:
	v_mov_b32_e32 v29, 0
	v_lshlrev_b64 v[0:1], 2, v[28:29]
	v_mov_b32_e32 v2, s23
	v_add_co_u32_e32 v0, vcc, s22, v0
	v_addc_co_u32_e32 v1, vcc, v2, v1, vcc
	global_load_dword v0, v[0:1], off
	v_or_b32_e32 v1, 0x100, v20
.LBB11_5:
	s_or_b64 exec, exec, s[4:5]
	v_cmp_gt_i32_e32 vcc, s26, v1
	s_and_saveexec_b64 s[4:5], vcc
	s_cbranch_execz .LBB11_7
; %bb.6:
	v_add_u32_e32 v2, s24, v1
	v_mov_b32_e32 v3, 0
	v_lshlrev_b64 v[2:3], 2, v[2:3]
	v_mov_b32_e32 v4, s23
	v_add_co_u32_e32 v2, vcc, s22, v2
	v_addc_co_u32_e32 v3, vcc, v4, v3, vcc
	global_load_dword v21, v[2:3], off
	v_add_u32_e32 v1, 0x100, v1
.LBB11_7:
	s_or_b64 exec, exec, s[4:5]
	v_cmp_gt_i32_e32 vcc, s26, v1
	v_mov_b32_e32 v22, 0
	v_mov_b32_e32 v23, 0
	s_and_saveexec_b64 s[4:5], vcc
	s_cbranch_execz .LBB11_9
; %bb.8:
	v_add_u32_e32 v2, s24, v1
	v_mov_b32_e32 v3, 0
	v_lshlrev_b64 v[2:3], 2, v[2:3]
	v_mov_b32_e32 v4, s23
	v_add_co_u32_e32 v2, vcc, s22, v2
	v_addc_co_u32_e32 v3, vcc, v4, v3, vcc
	global_load_dword v23, v[2:3], off
	v_add_u32_e32 v1, 0x100, v1
.LBB11_9:
	s_or_b64 exec, exec, s[4:5]
	v_cmp_gt_i32_e32 vcc, s26, v1
	s_and_saveexec_b64 s[4:5], vcc
	s_cbranch_execz .LBB11_11
; %bb.10:
	v_add_u32_e32 v1, s24, v1
	v_mov_b32_e32 v2, 0
	v_lshlrev_b64 v[1:2], 2, v[1:2]
	v_mov_b32_e32 v3, s23
	v_add_co_u32_e32 v1, vcc, s22, v1
	v_addc_co_u32_e32 v2, vcc, v3, v2, vcc
	global_load_dword v22, v[1:2], off
.LBB11_11:
	s_or_b64 exec, exec, s[4:5]
	v_mov_b32_e32 v24, 0
	v_mov_b32_e32 v25, v24
	;; [unrolled: 1-line block ×4, first 2 shown]
	s_and_saveexec_b64 s[22:23], s[18:19]
	s_cbranch_execz .LBB11_13
; %bb.12:
	s_getpc_b64 s[4:5]
	s_add_u32 s4, s4, _ZN3c104guts5applyIRZZZN2at6native12_GLOBAL__N_121bessel_j1_kernel_cudaERNS2_18TensorIteratorBaseEENKUlvE_clEvENKUlvE0_clEvEUlfE_RSt5tupleIJfEEEEDaOT_OT0_@rel32@lo+4
	s_addc_u32 s5, s5, _ZN3c104guts5applyIRZZZN2at6native12_GLOBAL__N_121bessel_j1_kernel_cudaERNS2_18TensorIteratorBaseEENKUlvE_clEvENKUlvE0_clEvEUlfE_RSt5tupleIJfEEEEDaOT_OT0_@rel32@hi+12
	s_swappc_b64 s[30:31], s[4:5]
	v_mov_b32_e32 v3, v24
	v_mov_b32_e32 v1, v24
	;; [unrolled: 1-line block ×7, first 2 shown]
.LBB11_13:
	s_or_b64 exec, exec, s[22:23]
	v_or_b32_e32 v30, 0x100, v20
	v_cmp_gt_i32_e32 vcc, s26, v30
	s_and_saveexec_b64 s[22:23], vcc
	s_cbranch_execz .LBB11_15
; %bb.14:
	s_getpc_b64 s[4:5]
	s_add_u32 s4, s4, _ZN3c104guts5applyIRZZZN2at6native12_GLOBAL__N_121bessel_j1_kernel_cudaERNS2_18TensorIteratorBaseEENKUlvE_clEvENKUlvE0_clEvEUlfE_RSt5tupleIJfEEEEDaOT_OT0_@rel32@lo+4
	s_addc_u32 s5, s5, _ZN3c104guts5applyIRZZZN2at6native12_GLOBAL__N_121bessel_j1_kernel_cudaERNS2_18TensorIteratorBaseEENKUlvE_clEvENKUlvE0_clEvEUlfE_RSt5tupleIJfEEEEDaOT_OT0_@rel32@hi+12
	s_waitcnt vmcnt(0)
	v_mov_b32_e32 v0, v21
	s_swappc_b64 s[30:31], s[4:5]
	v_mov_b32_e32 v25, v0
.LBB11_15:
	s_or_b64 exec, exec, s[22:23]
	s_waitcnt vmcnt(0)
	v_or_b32_e32 v0, 0x200, v20
	v_cmp_gt_i32_e32 vcc, s26, v0
	s_and_saveexec_b64 s[22:23], vcc
	s_cbranch_execz .LBB11_17
; %bb.16:
	s_getpc_b64 s[4:5]
	s_add_u32 s4, s4, _ZN3c104guts5applyIRZZZN2at6native12_GLOBAL__N_121bessel_j1_kernel_cudaERNS2_18TensorIteratorBaseEENKUlvE_clEvENKUlvE0_clEvEUlfE_RSt5tupleIJfEEEEDaOT_OT0_@rel32@lo+4
	s_addc_u32 s5, s5, _ZN3c104guts5applyIRZZZN2at6native12_GLOBAL__N_121bessel_j1_kernel_cudaERNS2_18TensorIteratorBaseEENKUlvE_clEvENKUlvE0_clEvEUlfE_RSt5tupleIJfEEEEDaOT_OT0_@rel32@hi+12
	v_mov_b32_e32 v0, v23
	s_swappc_b64 s[30:31], s[4:5]
	v_mov_b32_e32 v26, v0
.LBB11_17:
	s_or_b64 exec, exec, s[22:23]
	v_or_b32_e32 v0, 0x300, v20
	v_cmp_gt_i32_e32 vcc, s26, v0
	s_and_saveexec_b64 s[22:23], vcc
	s_cbranch_execnz .LBB11_24
; %bb.18:
	s_or_b64 exec, exec, s[22:23]
	s_and_saveexec_b64 s[4:5], s[18:19]
	s_xor_b64 s[4:5], exec, s[4:5]
	s_cbranch_execnz .LBB11_25
.LBB11_19:
	s_or_b64 exec, exec, s[4:5]
	v_cmp_gt_i32_e32 vcc, s26, v20
	s_and_saveexec_b64 s[4:5], vcc
	s_cbranch_execnz .LBB11_26
.LBB11_20:
	s_or_b64 exec, exec, s[4:5]
	v_cmp_gt_i32_e32 vcc, s26, v20
	s_and_saveexec_b64 s[4:5], vcc
	s_cbranch_execnz .LBB11_27
.LBB11_21:
	s_or_b64 exec, exec, s[4:5]
	v_cmp_gt_i32_e32 vcc, s26, v20
	s_and_saveexec_b64 s[4:5], vcc
	s_cbranch_execz .LBB11_23
.LBB11_22:
	v_add_u32_e32 v0, s24, v20
	v_mov_b32_e32 v1, 0
	v_lshlrev_b64 v[0:1], 2, v[0:1]
	v_mov_b32_e32 v2, s21
	v_add_co_u32_e32 v0, vcc, s20, v0
	v_addc_co_u32_e32 v1, vcc, v2, v1, vcc
	global_store_dword v[0:1], v27, off
.LBB11_23:
	s_endpgm
.LBB11_24:
	s_getpc_b64 s[4:5]
	s_add_u32 s4, s4, _ZN3c104guts5applyIRZZZN2at6native12_GLOBAL__N_121bessel_j1_kernel_cudaERNS2_18TensorIteratorBaseEENKUlvE_clEvENKUlvE0_clEvEUlfE_RSt5tupleIJfEEEEDaOT_OT0_@rel32@lo+4
	s_addc_u32 s5, s5, _ZN3c104guts5applyIRZZZN2at6native12_GLOBAL__N_121bessel_j1_kernel_cudaERNS2_18TensorIteratorBaseEENKUlvE_clEvENKUlvE0_clEvEUlfE_RSt5tupleIJfEEEEDaOT_OT0_@rel32@hi+12
	v_mov_b32_e32 v0, v22
	s_swappc_b64 s[30:31], s[4:5]
	v_mov_b32_e32 v27, v0
	s_or_b64 exec, exec, s[22:23]
	s_and_saveexec_b64 s[4:5], s[18:19]
	s_xor_b64 s[4:5], exec, s[4:5]
	s_cbranch_execz .LBB11_19
.LBB11_25:
	v_mov_b32_e32 v29, 0
	v_lshlrev_b64 v[0:1], 2, v[28:29]
	v_mov_b32_e32 v2, s21
	v_add_co_u32_e32 v0, vcc, s20, v0
	v_addc_co_u32_e32 v1, vcc, v2, v1, vcc
	v_mov_b32_e32 v20, v30
	global_store_dword v[0:1], v24, off
	s_or_b64 exec, exec, s[4:5]
	v_cmp_gt_i32_e32 vcc, s26, v20
	s_and_saveexec_b64 s[4:5], vcc
	s_cbranch_execz .LBB11_20
.LBB11_26:
	v_add_u32_e32 v0, s24, v20
	v_mov_b32_e32 v1, 0
	v_lshlrev_b64 v[0:1], 2, v[0:1]
	v_mov_b32_e32 v2, s21
	v_add_co_u32_e32 v0, vcc, s20, v0
	v_addc_co_u32_e32 v1, vcc, v2, v1, vcc
	v_add_u32_e32 v20, 0x100, v20
	global_store_dword v[0:1], v25, off
	s_or_b64 exec, exec, s[4:5]
	v_cmp_gt_i32_e32 vcc, s26, v20
	s_and_saveexec_b64 s[4:5], vcc
	s_cbranch_execz .LBB11_21
.LBB11_27:
	v_add_u32_e32 v0, s24, v20
	v_mov_b32_e32 v1, 0
	v_lshlrev_b64 v[0:1], 2, v[0:1]
	v_mov_b32_e32 v2, s21
	v_add_co_u32_e32 v0, vcc, s20, v0
	v_addc_co_u32_e32 v1, vcc, v2, v1, vcc
	v_add_u32_e32 v20, 0x100, v20
	global_store_dword v[0:1], v26, off
	s_or_b64 exec, exec, s[4:5]
	v_cmp_gt_i32_e32 vcc, s26, v20
	s_and_saveexec_b64 s[4:5], vcc
	s_cbranch_execnz .LBB11_22
	s_branch .LBB11_23
	.section	.rodata,"a",@progbits
	.p2align	6, 0x0
	.amdhsa_kernel _ZN2at6native29vectorized_elementwise_kernelILi8EZZZNS0_12_GLOBAL__N_121bessel_j1_kernel_cudaERNS_18TensorIteratorBaseEENKUlvE_clEvENKUlvE0_clEvEUlfE_St5arrayIPcLm2EEEEviT0_T1_
		.amdhsa_group_segment_fixed_size 0
		.amdhsa_private_segment_fixed_size 0
		.amdhsa_kernarg_size 24
		.amdhsa_user_sgpr_count 6
		.amdhsa_user_sgpr_private_segment_buffer 1
		.amdhsa_user_sgpr_dispatch_ptr 0
		.amdhsa_user_sgpr_queue_ptr 0
		.amdhsa_user_sgpr_kernarg_segment_ptr 1
		.amdhsa_user_sgpr_dispatch_id 0
		.amdhsa_user_sgpr_flat_scratch_init 0
		.amdhsa_user_sgpr_private_segment_size 0
		.amdhsa_uses_dynamic_stack 0
		.amdhsa_system_sgpr_private_segment_wavefront_offset 0
		.amdhsa_system_sgpr_workgroup_id_x 1
		.amdhsa_system_sgpr_workgroup_id_y 0
		.amdhsa_system_sgpr_workgroup_id_z 0
		.amdhsa_system_sgpr_workgroup_info 0
		.amdhsa_system_vgpr_workitem_id 0
		.amdhsa_next_free_vgpr 31
		.amdhsa_next_free_sgpr 33
		.amdhsa_reserve_vcc 1
		.amdhsa_reserve_flat_scratch 0
		.amdhsa_float_round_mode_32 0
		.amdhsa_float_round_mode_16_64 0
		.amdhsa_float_denorm_mode_32 3
		.amdhsa_float_denorm_mode_16_64 3
		.amdhsa_dx10_clamp 1
		.amdhsa_ieee_mode 1
		.amdhsa_fp16_overflow 0
		.amdhsa_exception_fp_ieee_invalid_op 0
		.amdhsa_exception_fp_denorm_src 0
		.amdhsa_exception_fp_ieee_div_zero 0
		.amdhsa_exception_fp_ieee_overflow 0
		.amdhsa_exception_fp_ieee_underflow 0
		.amdhsa_exception_fp_ieee_inexact 0
		.amdhsa_exception_int_div_zero 0
	.end_amdhsa_kernel
	.section	.text._ZN2at6native29vectorized_elementwise_kernelILi8EZZZNS0_12_GLOBAL__N_121bessel_j1_kernel_cudaERNS_18TensorIteratorBaseEENKUlvE_clEvENKUlvE0_clEvEUlfE_St5arrayIPcLm2EEEEviT0_T1_,"axG",@progbits,_ZN2at6native29vectorized_elementwise_kernelILi8EZZZNS0_12_GLOBAL__N_121bessel_j1_kernel_cudaERNS_18TensorIteratorBaseEENKUlvE_clEvENKUlvE0_clEvEUlfE_St5arrayIPcLm2EEEEviT0_T1_,comdat
.Lfunc_end11:
	.size	_ZN2at6native29vectorized_elementwise_kernelILi8EZZZNS0_12_GLOBAL__N_121bessel_j1_kernel_cudaERNS_18TensorIteratorBaseEENKUlvE_clEvENKUlvE0_clEvEUlfE_St5arrayIPcLm2EEEEviT0_T1_, .Lfunc_end11-_ZN2at6native29vectorized_elementwise_kernelILi8EZZZNS0_12_GLOBAL__N_121bessel_j1_kernel_cudaERNS_18TensorIteratorBaseEENKUlvE_clEvENKUlvE0_clEvEUlfE_St5arrayIPcLm2EEEEviT0_T1_
                                        ; -- End function
	.set _ZN2at6native29vectorized_elementwise_kernelILi8EZZZNS0_12_GLOBAL__N_121bessel_j1_kernel_cudaERNS_18TensorIteratorBaseEENKUlvE_clEvENKUlvE0_clEvEUlfE_St5arrayIPcLm2EEEEviT0_T1_.num_vgpr, max(31, .L_ZN3c104guts5applyIRZZZN2at6native12_GLOBAL__N_121bessel_j1_kernel_cudaERNS2_18TensorIteratorBaseEENKUlvE_clEvENKUlvE0_clEvEUlfE_RSt5tupleIJfEEEEDaOT_OT0_.num_vgpr)
	.set _ZN2at6native29vectorized_elementwise_kernelILi8EZZZNS0_12_GLOBAL__N_121bessel_j1_kernel_cudaERNS_18TensorIteratorBaseEENKUlvE_clEvENKUlvE0_clEvEUlfE_St5arrayIPcLm2EEEEviT0_T1_.num_agpr, max(0, .L_ZN3c104guts5applyIRZZZN2at6native12_GLOBAL__N_121bessel_j1_kernel_cudaERNS2_18TensorIteratorBaseEENKUlvE_clEvENKUlvE0_clEvEUlfE_RSt5tupleIJfEEEEDaOT_OT0_.num_agpr)
	.set _ZN2at6native29vectorized_elementwise_kernelILi8EZZZNS0_12_GLOBAL__N_121bessel_j1_kernel_cudaERNS_18TensorIteratorBaseEENKUlvE_clEvENKUlvE0_clEvEUlfE_St5arrayIPcLm2EEEEviT0_T1_.numbered_sgpr, max(33, .L_ZN3c104guts5applyIRZZZN2at6native12_GLOBAL__N_121bessel_j1_kernel_cudaERNS2_18TensorIteratorBaseEENKUlvE_clEvENKUlvE0_clEvEUlfE_RSt5tupleIJfEEEEDaOT_OT0_.numbered_sgpr)
	.set _ZN2at6native29vectorized_elementwise_kernelILi8EZZZNS0_12_GLOBAL__N_121bessel_j1_kernel_cudaERNS_18TensorIteratorBaseEENKUlvE_clEvENKUlvE0_clEvEUlfE_St5arrayIPcLm2EEEEviT0_T1_.num_named_barrier, max(0, .L_ZN3c104guts5applyIRZZZN2at6native12_GLOBAL__N_121bessel_j1_kernel_cudaERNS2_18TensorIteratorBaseEENKUlvE_clEvENKUlvE0_clEvEUlfE_RSt5tupleIJfEEEEDaOT_OT0_.num_named_barrier)
	.set _ZN2at6native29vectorized_elementwise_kernelILi8EZZZNS0_12_GLOBAL__N_121bessel_j1_kernel_cudaERNS_18TensorIteratorBaseEENKUlvE_clEvENKUlvE0_clEvEUlfE_St5arrayIPcLm2EEEEviT0_T1_.private_seg_size, 0+max(.L_ZN3c104guts5applyIRZZZN2at6native12_GLOBAL__N_121bessel_j1_kernel_cudaERNS2_18TensorIteratorBaseEENKUlvE_clEvENKUlvE0_clEvEUlfE_RSt5tupleIJfEEEEDaOT_OT0_.private_seg_size)
	.set _ZN2at6native29vectorized_elementwise_kernelILi8EZZZNS0_12_GLOBAL__N_121bessel_j1_kernel_cudaERNS_18TensorIteratorBaseEENKUlvE_clEvENKUlvE0_clEvEUlfE_St5arrayIPcLm2EEEEviT0_T1_.uses_vcc, or(1, .L_ZN3c104guts5applyIRZZZN2at6native12_GLOBAL__N_121bessel_j1_kernel_cudaERNS2_18TensorIteratorBaseEENKUlvE_clEvENKUlvE0_clEvEUlfE_RSt5tupleIJfEEEEDaOT_OT0_.uses_vcc)
	.set _ZN2at6native29vectorized_elementwise_kernelILi8EZZZNS0_12_GLOBAL__N_121bessel_j1_kernel_cudaERNS_18TensorIteratorBaseEENKUlvE_clEvENKUlvE0_clEvEUlfE_St5arrayIPcLm2EEEEviT0_T1_.uses_flat_scratch, or(0, .L_ZN3c104guts5applyIRZZZN2at6native12_GLOBAL__N_121bessel_j1_kernel_cudaERNS2_18TensorIteratorBaseEENKUlvE_clEvENKUlvE0_clEvEUlfE_RSt5tupleIJfEEEEDaOT_OT0_.uses_flat_scratch)
	.set _ZN2at6native29vectorized_elementwise_kernelILi8EZZZNS0_12_GLOBAL__N_121bessel_j1_kernel_cudaERNS_18TensorIteratorBaseEENKUlvE_clEvENKUlvE0_clEvEUlfE_St5arrayIPcLm2EEEEviT0_T1_.has_dyn_sized_stack, or(0, .L_ZN3c104guts5applyIRZZZN2at6native12_GLOBAL__N_121bessel_j1_kernel_cudaERNS2_18TensorIteratorBaseEENKUlvE_clEvENKUlvE0_clEvEUlfE_RSt5tupleIJfEEEEDaOT_OT0_.has_dyn_sized_stack)
	.set _ZN2at6native29vectorized_elementwise_kernelILi8EZZZNS0_12_GLOBAL__N_121bessel_j1_kernel_cudaERNS_18TensorIteratorBaseEENKUlvE_clEvENKUlvE0_clEvEUlfE_St5arrayIPcLm2EEEEviT0_T1_.has_recursion, or(0, .L_ZN3c104guts5applyIRZZZN2at6native12_GLOBAL__N_121bessel_j1_kernel_cudaERNS2_18TensorIteratorBaseEENKUlvE_clEvENKUlvE0_clEvEUlfE_RSt5tupleIJfEEEEDaOT_OT0_.has_recursion)
	.set _ZN2at6native29vectorized_elementwise_kernelILi8EZZZNS0_12_GLOBAL__N_121bessel_j1_kernel_cudaERNS_18TensorIteratorBaseEENKUlvE_clEvENKUlvE0_clEvEUlfE_St5arrayIPcLm2EEEEviT0_T1_.has_indirect_call, or(0, .L_ZN3c104guts5applyIRZZZN2at6native12_GLOBAL__N_121bessel_j1_kernel_cudaERNS2_18TensorIteratorBaseEENKUlvE_clEvENKUlvE0_clEvEUlfE_RSt5tupleIJfEEEEDaOT_OT0_.has_indirect_call)
	.section	.AMDGPU.csdata,"",@progbits
; Kernel info:
; codeLenInByte = 988
; TotalNumSgprs: 37
; NumVgprs: 31
; ScratchSize: 0
; MemoryBound: 0
; FloatMode: 240
; IeeeMode: 1
; LDSByteSize: 0 bytes/workgroup (compile time only)
; SGPRBlocks: 4
; VGPRBlocks: 7
; NumSGPRsForWavesPerEU: 37
; NumVGPRsForWavesPerEU: 31
; Occupancy: 8
; WaveLimiterHint : 0
; COMPUTE_PGM_RSRC2:SCRATCH_EN: 0
; COMPUTE_PGM_RSRC2:USER_SGPR: 6
; COMPUTE_PGM_RSRC2:TRAP_HANDLER: 0
; COMPUTE_PGM_RSRC2:TGID_X_EN: 1
; COMPUTE_PGM_RSRC2:TGID_Y_EN: 0
; COMPUTE_PGM_RSRC2:TGID_Z_EN: 0
; COMPUTE_PGM_RSRC2:TIDIG_COMP_CNT: 0
	.section	.text._ZN2at6native29vectorized_elementwise_kernelILi4EZZZNS0_12_GLOBAL__N_121bessel_j1_kernel_cudaERNS_18TensorIteratorBaseEENKUlvE_clEvENKUlvE0_clEvEUlfE_St5arrayIPcLm2EEEEviT0_T1_,"axG",@progbits,_ZN2at6native29vectorized_elementwise_kernelILi4EZZZNS0_12_GLOBAL__N_121bessel_j1_kernel_cudaERNS_18TensorIteratorBaseEENKUlvE_clEvENKUlvE0_clEvEUlfE_St5arrayIPcLm2EEEEviT0_T1_,comdat
	.globl	_ZN2at6native29vectorized_elementwise_kernelILi4EZZZNS0_12_GLOBAL__N_121bessel_j1_kernel_cudaERNS_18TensorIteratorBaseEENKUlvE_clEvENKUlvE0_clEvEUlfE_St5arrayIPcLm2EEEEviT0_T1_ ; -- Begin function _ZN2at6native29vectorized_elementwise_kernelILi4EZZZNS0_12_GLOBAL__N_121bessel_j1_kernel_cudaERNS_18TensorIteratorBaseEENKUlvE_clEvENKUlvE0_clEvEUlfE_St5arrayIPcLm2EEEEviT0_T1_
	.p2align	8
	.type	_ZN2at6native29vectorized_elementwise_kernelILi4EZZZNS0_12_GLOBAL__N_121bessel_j1_kernel_cudaERNS_18TensorIteratorBaseEENKUlvE_clEvENKUlvE0_clEvEUlfE_St5arrayIPcLm2EEEEviT0_T1_,@function
_ZN2at6native29vectorized_elementwise_kernelILi4EZZZNS0_12_GLOBAL__N_121bessel_j1_kernel_cudaERNS_18TensorIteratorBaseEENKUlvE_clEvENKUlvE0_clEvEUlfE_St5arrayIPcLm2EEEEviT0_T1_: ; @_ZN2at6native29vectorized_elementwise_kernelILi4EZZZNS0_12_GLOBAL__N_121bessel_j1_kernel_cudaERNS_18TensorIteratorBaseEENKUlvE_clEvENKUlvE0_clEvEUlfE_St5arrayIPcLm2EEEEviT0_T1_
; %bb.0:
	s_add_u32 s0, s0, s7
	s_load_dword s7, s[4:5], 0x0
	s_load_dwordx4 s[20:23], s[4:5], 0x8
	s_addc_u32 s1, s1, 0
	s_lshl_b32 s24, s6, 10
	v_mov_b32_e32 v20, v0
	s_waitcnt lgkmcnt(0)
	s_sub_i32 s26, s7, s24
	s_cmpk_gt_i32 s26, 0x3ff
	s_mov_b64 s[4:5], -1
	s_mov_b32 s32, 0
	s_cbranch_scc0 .LBB12_2
; %bb.1:
	s_ashr_i32 s25, s24, 31
	s_lshl_b64 s[18:19], s[24:25], 2
	s_add_u32 s4, s22, s18
	s_addc_u32 s5, s23, s19
	v_lshlrev_b32_e32 v25, 4, v20
	global_load_dwordx4 v[21:24], v25, s[4:5]
	s_getpc_b64 s[28:29]
	s_add_u32 s28, s28, _ZN3c104guts5applyIRZZZN2at6native12_GLOBAL__N_121bessel_j1_kernel_cudaERNS2_18TensorIteratorBaseEENKUlvE_clEvENKUlvE0_clEvEUlfE_RSt5tupleIJfEEEEDaOT_OT0_@rel32@lo+4
	s_addc_u32 s29, s29, _ZN3c104guts5applyIRZZZN2at6native12_GLOBAL__N_121bessel_j1_kernel_cudaERNS2_18TensorIteratorBaseEENKUlvE_clEvENKUlvE0_clEvEUlfE_RSt5tupleIJfEEEEDaOT_OT0_@rel32@hi+12
	s_waitcnt vmcnt(0)
	v_mov_b32_e32 v0, v21
	s_swappc_b64 s[30:31], s[28:29]
	v_mov_b32_e32 v21, v0
	v_mov_b32_e32 v0, v22
	s_swappc_b64 s[30:31], s[28:29]
	v_mov_b32_e32 v22, v0
	;; [unrolled: 3-line block ×3, first 2 shown]
	v_mov_b32_e32 v0, v24
	s_swappc_b64 s[30:31], s[28:29]
	s_add_u32 s4, s20, s18
	v_mov_b32_e32 v24, v0
	s_addc_u32 s5, s21, s19
	global_store_dwordx4 v25, v[21:24], s[4:5]
	s_mov_b64 s[4:5], 0
.LBB12_2:
	s_andn2_b64 vcc, exec, s[4:5]
	s_cbranch_vccnz .LBB12_23
; %bb.3:
	v_cmp_gt_i32_e64 s[18:19], s26, v20
	v_mov_b32_e32 v21, 0
	v_or_b32_e32 v28, s24, v20
	v_mov_b32_e32 v0, 0
	v_mov_b32_e32 v1, v20
	s_and_saveexec_b64 s[4:5], s[18:19]
	s_cbranch_execz .LBB12_5
; %bb.4:
	v_mov_b32_e32 v29, 0
	v_lshlrev_b64 v[0:1], 2, v[28:29]
	v_mov_b32_e32 v2, s23
	v_add_co_u32_e32 v0, vcc, s22, v0
	v_addc_co_u32_e32 v1, vcc, v2, v1, vcc
	global_load_dword v0, v[0:1], off
	v_or_b32_e32 v1, 0x100, v20
.LBB12_5:
	s_or_b64 exec, exec, s[4:5]
	v_cmp_gt_i32_e32 vcc, s26, v1
	s_and_saveexec_b64 s[4:5], vcc
	s_cbranch_execz .LBB12_7
; %bb.6:
	v_add_u32_e32 v2, s24, v1
	v_mov_b32_e32 v3, 0
	v_lshlrev_b64 v[2:3], 2, v[2:3]
	v_mov_b32_e32 v4, s23
	v_add_co_u32_e32 v2, vcc, s22, v2
	v_addc_co_u32_e32 v3, vcc, v4, v3, vcc
	global_load_dword v21, v[2:3], off
	v_add_u32_e32 v1, 0x100, v1
.LBB12_7:
	s_or_b64 exec, exec, s[4:5]
	v_cmp_gt_i32_e32 vcc, s26, v1
	v_mov_b32_e32 v22, 0
	v_mov_b32_e32 v23, 0
	s_and_saveexec_b64 s[4:5], vcc
	s_cbranch_execz .LBB12_9
; %bb.8:
	v_add_u32_e32 v2, s24, v1
	v_mov_b32_e32 v3, 0
	v_lshlrev_b64 v[2:3], 2, v[2:3]
	v_mov_b32_e32 v4, s23
	v_add_co_u32_e32 v2, vcc, s22, v2
	v_addc_co_u32_e32 v3, vcc, v4, v3, vcc
	global_load_dword v23, v[2:3], off
	v_add_u32_e32 v1, 0x100, v1
.LBB12_9:
	s_or_b64 exec, exec, s[4:5]
	v_cmp_gt_i32_e32 vcc, s26, v1
	s_and_saveexec_b64 s[4:5], vcc
	s_cbranch_execz .LBB12_11
; %bb.10:
	v_add_u32_e32 v1, s24, v1
	v_mov_b32_e32 v2, 0
	v_lshlrev_b64 v[1:2], 2, v[1:2]
	v_mov_b32_e32 v3, s23
	v_add_co_u32_e32 v1, vcc, s22, v1
	v_addc_co_u32_e32 v2, vcc, v3, v2, vcc
	global_load_dword v22, v[1:2], off
.LBB12_11:
	s_or_b64 exec, exec, s[4:5]
	v_mov_b32_e32 v24, 0
	v_mov_b32_e32 v25, v24
	;; [unrolled: 1-line block ×4, first 2 shown]
	s_and_saveexec_b64 s[22:23], s[18:19]
	s_cbranch_execz .LBB12_13
; %bb.12:
	s_getpc_b64 s[4:5]
	s_add_u32 s4, s4, _ZN3c104guts5applyIRZZZN2at6native12_GLOBAL__N_121bessel_j1_kernel_cudaERNS2_18TensorIteratorBaseEENKUlvE_clEvENKUlvE0_clEvEUlfE_RSt5tupleIJfEEEEDaOT_OT0_@rel32@lo+4
	s_addc_u32 s5, s5, _ZN3c104guts5applyIRZZZN2at6native12_GLOBAL__N_121bessel_j1_kernel_cudaERNS2_18TensorIteratorBaseEENKUlvE_clEvENKUlvE0_clEvEUlfE_RSt5tupleIJfEEEEDaOT_OT0_@rel32@hi+12
	s_swappc_b64 s[30:31], s[4:5]
	v_mov_b32_e32 v3, v24
	v_mov_b32_e32 v1, v24
	;; [unrolled: 1-line block ×7, first 2 shown]
.LBB12_13:
	s_or_b64 exec, exec, s[22:23]
	v_or_b32_e32 v30, 0x100, v20
	v_cmp_gt_i32_e32 vcc, s26, v30
	s_and_saveexec_b64 s[22:23], vcc
	s_cbranch_execz .LBB12_15
; %bb.14:
	s_getpc_b64 s[4:5]
	s_add_u32 s4, s4, _ZN3c104guts5applyIRZZZN2at6native12_GLOBAL__N_121bessel_j1_kernel_cudaERNS2_18TensorIteratorBaseEENKUlvE_clEvENKUlvE0_clEvEUlfE_RSt5tupleIJfEEEEDaOT_OT0_@rel32@lo+4
	s_addc_u32 s5, s5, _ZN3c104guts5applyIRZZZN2at6native12_GLOBAL__N_121bessel_j1_kernel_cudaERNS2_18TensorIteratorBaseEENKUlvE_clEvENKUlvE0_clEvEUlfE_RSt5tupleIJfEEEEDaOT_OT0_@rel32@hi+12
	s_waitcnt vmcnt(0)
	v_mov_b32_e32 v0, v21
	s_swappc_b64 s[30:31], s[4:5]
	v_mov_b32_e32 v25, v0
.LBB12_15:
	s_or_b64 exec, exec, s[22:23]
	s_waitcnt vmcnt(0)
	v_or_b32_e32 v0, 0x200, v20
	v_cmp_gt_i32_e32 vcc, s26, v0
	s_and_saveexec_b64 s[22:23], vcc
	s_cbranch_execz .LBB12_17
; %bb.16:
	s_getpc_b64 s[4:5]
	s_add_u32 s4, s4, _ZN3c104guts5applyIRZZZN2at6native12_GLOBAL__N_121bessel_j1_kernel_cudaERNS2_18TensorIteratorBaseEENKUlvE_clEvENKUlvE0_clEvEUlfE_RSt5tupleIJfEEEEDaOT_OT0_@rel32@lo+4
	s_addc_u32 s5, s5, _ZN3c104guts5applyIRZZZN2at6native12_GLOBAL__N_121bessel_j1_kernel_cudaERNS2_18TensorIteratorBaseEENKUlvE_clEvENKUlvE0_clEvEUlfE_RSt5tupleIJfEEEEDaOT_OT0_@rel32@hi+12
	v_mov_b32_e32 v0, v23
	s_swappc_b64 s[30:31], s[4:5]
	v_mov_b32_e32 v26, v0
.LBB12_17:
	s_or_b64 exec, exec, s[22:23]
	v_or_b32_e32 v0, 0x300, v20
	v_cmp_gt_i32_e32 vcc, s26, v0
	s_and_saveexec_b64 s[22:23], vcc
	s_cbranch_execnz .LBB12_24
; %bb.18:
	s_or_b64 exec, exec, s[22:23]
	s_and_saveexec_b64 s[4:5], s[18:19]
	s_xor_b64 s[4:5], exec, s[4:5]
	s_cbranch_execnz .LBB12_25
.LBB12_19:
	s_or_b64 exec, exec, s[4:5]
	v_cmp_gt_i32_e32 vcc, s26, v20
	s_and_saveexec_b64 s[4:5], vcc
	s_cbranch_execnz .LBB12_26
.LBB12_20:
	s_or_b64 exec, exec, s[4:5]
	v_cmp_gt_i32_e32 vcc, s26, v20
	s_and_saveexec_b64 s[4:5], vcc
	s_cbranch_execnz .LBB12_27
.LBB12_21:
	s_or_b64 exec, exec, s[4:5]
	v_cmp_gt_i32_e32 vcc, s26, v20
	s_and_saveexec_b64 s[4:5], vcc
	s_cbranch_execz .LBB12_23
.LBB12_22:
	v_add_u32_e32 v0, s24, v20
	v_mov_b32_e32 v1, 0
	v_lshlrev_b64 v[0:1], 2, v[0:1]
	v_mov_b32_e32 v2, s21
	v_add_co_u32_e32 v0, vcc, s20, v0
	v_addc_co_u32_e32 v1, vcc, v2, v1, vcc
	global_store_dword v[0:1], v27, off
.LBB12_23:
	s_endpgm
.LBB12_24:
	s_getpc_b64 s[4:5]
	s_add_u32 s4, s4, _ZN3c104guts5applyIRZZZN2at6native12_GLOBAL__N_121bessel_j1_kernel_cudaERNS2_18TensorIteratorBaseEENKUlvE_clEvENKUlvE0_clEvEUlfE_RSt5tupleIJfEEEEDaOT_OT0_@rel32@lo+4
	s_addc_u32 s5, s5, _ZN3c104guts5applyIRZZZN2at6native12_GLOBAL__N_121bessel_j1_kernel_cudaERNS2_18TensorIteratorBaseEENKUlvE_clEvENKUlvE0_clEvEUlfE_RSt5tupleIJfEEEEDaOT_OT0_@rel32@hi+12
	v_mov_b32_e32 v0, v22
	s_swappc_b64 s[30:31], s[4:5]
	v_mov_b32_e32 v27, v0
	s_or_b64 exec, exec, s[22:23]
	s_and_saveexec_b64 s[4:5], s[18:19]
	s_xor_b64 s[4:5], exec, s[4:5]
	s_cbranch_execz .LBB12_19
.LBB12_25:
	v_mov_b32_e32 v29, 0
	v_lshlrev_b64 v[0:1], 2, v[28:29]
	v_mov_b32_e32 v2, s21
	v_add_co_u32_e32 v0, vcc, s20, v0
	v_addc_co_u32_e32 v1, vcc, v2, v1, vcc
	v_mov_b32_e32 v20, v30
	global_store_dword v[0:1], v24, off
	s_or_b64 exec, exec, s[4:5]
	v_cmp_gt_i32_e32 vcc, s26, v20
	s_and_saveexec_b64 s[4:5], vcc
	s_cbranch_execz .LBB12_20
.LBB12_26:
	v_add_u32_e32 v0, s24, v20
	v_mov_b32_e32 v1, 0
	v_lshlrev_b64 v[0:1], 2, v[0:1]
	v_mov_b32_e32 v2, s21
	v_add_co_u32_e32 v0, vcc, s20, v0
	v_addc_co_u32_e32 v1, vcc, v2, v1, vcc
	v_add_u32_e32 v20, 0x100, v20
	global_store_dword v[0:1], v25, off
	s_or_b64 exec, exec, s[4:5]
	v_cmp_gt_i32_e32 vcc, s26, v20
	s_and_saveexec_b64 s[4:5], vcc
	s_cbranch_execz .LBB12_21
.LBB12_27:
	v_add_u32_e32 v0, s24, v20
	v_mov_b32_e32 v1, 0
	v_lshlrev_b64 v[0:1], 2, v[0:1]
	v_mov_b32_e32 v2, s21
	v_add_co_u32_e32 v0, vcc, s20, v0
	v_addc_co_u32_e32 v1, vcc, v2, v1, vcc
	v_add_u32_e32 v20, 0x100, v20
	global_store_dword v[0:1], v26, off
	s_or_b64 exec, exec, s[4:5]
	v_cmp_gt_i32_e32 vcc, s26, v20
	s_and_saveexec_b64 s[4:5], vcc
	s_cbranch_execnz .LBB12_22
	s_branch .LBB12_23
	.section	.rodata,"a",@progbits
	.p2align	6, 0x0
	.amdhsa_kernel _ZN2at6native29vectorized_elementwise_kernelILi4EZZZNS0_12_GLOBAL__N_121bessel_j1_kernel_cudaERNS_18TensorIteratorBaseEENKUlvE_clEvENKUlvE0_clEvEUlfE_St5arrayIPcLm2EEEEviT0_T1_
		.amdhsa_group_segment_fixed_size 0
		.amdhsa_private_segment_fixed_size 0
		.amdhsa_kernarg_size 24
		.amdhsa_user_sgpr_count 6
		.amdhsa_user_sgpr_private_segment_buffer 1
		.amdhsa_user_sgpr_dispatch_ptr 0
		.amdhsa_user_sgpr_queue_ptr 0
		.amdhsa_user_sgpr_kernarg_segment_ptr 1
		.amdhsa_user_sgpr_dispatch_id 0
		.amdhsa_user_sgpr_flat_scratch_init 0
		.amdhsa_user_sgpr_private_segment_size 0
		.amdhsa_uses_dynamic_stack 0
		.amdhsa_system_sgpr_private_segment_wavefront_offset 0
		.amdhsa_system_sgpr_workgroup_id_x 1
		.amdhsa_system_sgpr_workgroup_id_y 0
		.amdhsa_system_sgpr_workgroup_id_z 0
		.amdhsa_system_sgpr_workgroup_info 0
		.amdhsa_system_vgpr_workitem_id 0
		.amdhsa_next_free_vgpr 31
		.amdhsa_next_free_sgpr 33
		.amdhsa_reserve_vcc 1
		.amdhsa_reserve_flat_scratch 0
		.amdhsa_float_round_mode_32 0
		.amdhsa_float_round_mode_16_64 0
		.amdhsa_float_denorm_mode_32 3
		.amdhsa_float_denorm_mode_16_64 3
		.amdhsa_dx10_clamp 1
		.amdhsa_ieee_mode 1
		.amdhsa_fp16_overflow 0
		.amdhsa_exception_fp_ieee_invalid_op 0
		.amdhsa_exception_fp_denorm_src 0
		.amdhsa_exception_fp_ieee_div_zero 0
		.amdhsa_exception_fp_ieee_overflow 0
		.amdhsa_exception_fp_ieee_underflow 0
		.amdhsa_exception_fp_ieee_inexact 0
		.amdhsa_exception_int_div_zero 0
	.end_amdhsa_kernel
	.section	.text._ZN2at6native29vectorized_elementwise_kernelILi4EZZZNS0_12_GLOBAL__N_121bessel_j1_kernel_cudaERNS_18TensorIteratorBaseEENKUlvE_clEvENKUlvE0_clEvEUlfE_St5arrayIPcLm2EEEEviT0_T1_,"axG",@progbits,_ZN2at6native29vectorized_elementwise_kernelILi4EZZZNS0_12_GLOBAL__N_121bessel_j1_kernel_cudaERNS_18TensorIteratorBaseEENKUlvE_clEvENKUlvE0_clEvEUlfE_St5arrayIPcLm2EEEEviT0_T1_,comdat
.Lfunc_end12:
	.size	_ZN2at6native29vectorized_elementwise_kernelILi4EZZZNS0_12_GLOBAL__N_121bessel_j1_kernel_cudaERNS_18TensorIteratorBaseEENKUlvE_clEvENKUlvE0_clEvEUlfE_St5arrayIPcLm2EEEEviT0_T1_, .Lfunc_end12-_ZN2at6native29vectorized_elementwise_kernelILi4EZZZNS0_12_GLOBAL__N_121bessel_j1_kernel_cudaERNS_18TensorIteratorBaseEENKUlvE_clEvENKUlvE0_clEvEUlfE_St5arrayIPcLm2EEEEviT0_T1_
                                        ; -- End function
	.set _ZN2at6native29vectorized_elementwise_kernelILi4EZZZNS0_12_GLOBAL__N_121bessel_j1_kernel_cudaERNS_18TensorIteratorBaseEENKUlvE_clEvENKUlvE0_clEvEUlfE_St5arrayIPcLm2EEEEviT0_T1_.num_vgpr, max(31, .L_ZN3c104guts5applyIRZZZN2at6native12_GLOBAL__N_121bessel_j1_kernel_cudaERNS2_18TensorIteratorBaseEENKUlvE_clEvENKUlvE0_clEvEUlfE_RSt5tupleIJfEEEEDaOT_OT0_.num_vgpr)
	.set _ZN2at6native29vectorized_elementwise_kernelILi4EZZZNS0_12_GLOBAL__N_121bessel_j1_kernel_cudaERNS_18TensorIteratorBaseEENKUlvE_clEvENKUlvE0_clEvEUlfE_St5arrayIPcLm2EEEEviT0_T1_.num_agpr, max(0, .L_ZN3c104guts5applyIRZZZN2at6native12_GLOBAL__N_121bessel_j1_kernel_cudaERNS2_18TensorIteratorBaseEENKUlvE_clEvENKUlvE0_clEvEUlfE_RSt5tupleIJfEEEEDaOT_OT0_.num_agpr)
	.set _ZN2at6native29vectorized_elementwise_kernelILi4EZZZNS0_12_GLOBAL__N_121bessel_j1_kernel_cudaERNS_18TensorIteratorBaseEENKUlvE_clEvENKUlvE0_clEvEUlfE_St5arrayIPcLm2EEEEviT0_T1_.numbered_sgpr, max(33, .L_ZN3c104guts5applyIRZZZN2at6native12_GLOBAL__N_121bessel_j1_kernel_cudaERNS2_18TensorIteratorBaseEENKUlvE_clEvENKUlvE0_clEvEUlfE_RSt5tupleIJfEEEEDaOT_OT0_.numbered_sgpr)
	.set _ZN2at6native29vectorized_elementwise_kernelILi4EZZZNS0_12_GLOBAL__N_121bessel_j1_kernel_cudaERNS_18TensorIteratorBaseEENKUlvE_clEvENKUlvE0_clEvEUlfE_St5arrayIPcLm2EEEEviT0_T1_.num_named_barrier, max(0, .L_ZN3c104guts5applyIRZZZN2at6native12_GLOBAL__N_121bessel_j1_kernel_cudaERNS2_18TensorIteratorBaseEENKUlvE_clEvENKUlvE0_clEvEUlfE_RSt5tupleIJfEEEEDaOT_OT0_.num_named_barrier)
	.set _ZN2at6native29vectorized_elementwise_kernelILi4EZZZNS0_12_GLOBAL__N_121bessel_j1_kernel_cudaERNS_18TensorIteratorBaseEENKUlvE_clEvENKUlvE0_clEvEUlfE_St5arrayIPcLm2EEEEviT0_T1_.private_seg_size, 0+max(.L_ZN3c104guts5applyIRZZZN2at6native12_GLOBAL__N_121bessel_j1_kernel_cudaERNS2_18TensorIteratorBaseEENKUlvE_clEvENKUlvE0_clEvEUlfE_RSt5tupleIJfEEEEDaOT_OT0_.private_seg_size)
	.set _ZN2at6native29vectorized_elementwise_kernelILi4EZZZNS0_12_GLOBAL__N_121bessel_j1_kernel_cudaERNS_18TensorIteratorBaseEENKUlvE_clEvENKUlvE0_clEvEUlfE_St5arrayIPcLm2EEEEviT0_T1_.uses_vcc, or(1, .L_ZN3c104guts5applyIRZZZN2at6native12_GLOBAL__N_121bessel_j1_kernel_cudaERNS2_18TensorIteratorBaseEENKUlvE_clEvENKUlvE0_clEvEUlfE_RSt5tupleIJfEEEEDaOT_OT0_.uses_vcc)
	.set _ZN2at6native29vectorized_elementwise_kernelILi4EZZZNS0_12_GLOBAL__N_121bessel_j1_kernel_cudaERNS_18TensorIteratorBaseEENKUlvE_clEvENKUlvE0_clEvEUlfE_St5arrayIPcLm2EEEEviT0_T1_.uses_flat_scratch, or(0, .L_ZN3c104guts5applyIRZZZN2at6native12_GLOBAL__N_121bessel_j1_kernel_cudaERNS2_18TensorIteratorBaseEENKUlvE_clEvENKUlvE0_clEvEUlfE_RSt5tupleIJfEEEEDaOT_OT0_.uses_flat_scratch)
	.set _ZN2at6native29vectorized_elementwise_kernelILi4EZZZNS0_12_GLOBAL__N_121bessel_j1_kernel_cudaERNS_18TensorIteratorBaseEENKUlvE_clEvENKUlvE0_clEvEUlfE_St5arrayIPcLm2EEEEviT0_T1_.has_dyn_sized_stack, or(0, .L_ZN3c104guts5applyIRZZZN2at6native12_GLOBAL__N_121bessel_j1_kernel_cudaERNS2_18TensorIteratorBaseEENKUlvE_clEvENKUlvE0_clEvEUlfE_RSt5tupleIJfEEEEDaOT_OT0_.has_dyn_sized_stack)
	.set _ZN2at6native29vectorized_elementwise_kernelILi4EZZZNS0_12_GLOBAL__N_121bessel_j1_kernel_cudaERNS_18TensorIteratorBaseEENKUlvE_clEvENKUlvE0_clEvEUlfE_St5arrayIPcLm2EEEEviT0_T1_.has_recursion, or(0, .L_ZN3c104guts5applyIRZZZN2at6native12_GLOBAL__N_121bessel_j1_kernel_cudaERNS2_18TensorIteratorBaseEENKUlvE_clEvENKUlvE0_clEvEUlfE_RSt5tupleIJfEEEEDaOT_OT0_.has_recursion)
	.set _ZN2at6native29vectorized_elementwise_kernelILi4EZZZNS0_12_GLOBAL__N_121bessel_j1_kernel_cudaERNS_18TensorIteratorBaseEENKUlvE_clEvENKUlvE0_clEvEUlfE_St5arrayIPcLm2EEEEviT0_T1_.has_indirect_call, or(0, .L_ZN3c104guts5applyIRZZZN2at6native12_GLOBAL__N_121bessel_j1_kernel_cudaERNS2_18TensorIteratorBaseEENKUlvE_clEvENKUlvE0_clEvEUlfE_RSt5tupleIJfEEEEDaOT_OT0_.has_indirect_call)
	.section	.AMDGPU.csdata,"",@progbits
; Kernel info:
; codeLenInByte = 988
; TotalNumSgprs: 37
; NumVgprs: 31
; ScratchSize: 0
; MemoryBound: 0
; FloatMode: 240
; IeeeMode: 1
; LDSByteSize: 0 bytes/workgroup (compile time only)
; SGPRBlocks: 4
; VGPRBlocks: 7
; NumSGPRsForWavesPerEU: 37
; NumVGPRsForWavesPerEU: 31
; Occupancy: 8
; WaveLimiterHint : 0
; COMPUTE_PGM_RSRC2:SCRATCH_EN: 0
; COMPUTE_PGM_RSRC2:USER_SGPR: 6
; COMPUTE_PGM_RSRC2:TRAP_HANDLER: 0
; COMPUTE_PGM_RSRC2:TGID_X_EN: 1
; COMPUTE_PGM_RSRC2:TGID_Y_EN: 0
; COMPUTE_PGM_RSRC2:TGID_Z_EN: 0
; COMPUTE_PGM_RSRC2:TIDIG_COMP_CNT: 0
	.section	.text._ZN2at6native29vectorized_elementwise_kernelILi2EZZZNS0_12_GLOBAL__N_121bessel_j1_kernel_cudaERNS_18TensorIteratorBaseEENKUlvE_clEvENKUlvE0_clEvEUlfE_St5arrayIPcLm2EEEEviT0_T1_,"axG",@progbits,_ZN2at6native29vectorized_elementwise_kernelILi2EZZZNS0_12_GLOBAL__N_121bessel_j1_kernel_cudaERNS_18TensorIteratorBaseEENKUlvE_clEvENKUlvE0_clEvEUlfE_St5arrayIPcLm2EEEEviT0_T1_,comdat
	.globl	_ZN2at6native29vectorized_elementwise_kernelILi2EZZZNS0_12_GLOBAL__N_121bessel_j1_kernel_cudaERNS_18TensorIteratorBaseEENKUlvE_clEvENKUlvE0_clEvEUlfE_St5arrayIPcLm2EEEEviT0_T1_ ; -- Begin function _ZN2at6native29vectorized_elementwise_kernelILi2EZZZNS0_12_GLOBAL__N_121bessel_j1_kernel_cudaERNS_18TensorIteratorBaseEENKUlvE_clEvENKUlvE0_clEvEUlfE_St5arrayIPcLm2EEEEviT0_T1_
	.p2align	8
	.type	_ZN2at6native29vectorized_elementwise_kernelILi2EZZZNS0_12_GLOBAL__N_121bessel_j1_kernel_cudaERNS_18TensorIteratorBaseEENKUlvE_clEvENKUlvE0_clEvEUlfE_St5arrayIPcLm2EEEEviT0_T1_,@function
_ZN2at6native29vectorized_elementwise_kernelILi2EZZZNS0_12_GLOBAL__N_121bessel_j1_kernel_cudaERNS_18TensorIteratorBaseEENKUlvE_clEvENKUlvE0_clEvEUlfE_St5arrayIPcLm2EEEEviT0_T1_: ; @_ZN2at6native29vectorized_elementwise_kernelILi2EZZZNS0_12_GLOBAL__N_121bessel_j1_kernel_cudaERNS_18TensorIteratorBaseEENKUlvE_clEvENKUlvE0_clEvEUlfE_St5arrayIPcLm2EEEEviT0_T1_
; %bb.0:
	s_add_u32 s0, s0, s7
	s_load_dword s7, s[4:5], 0x0
	s_load_dwordx4 s[20:23], s[4:5], 0x8
	s_addc_u32 s1, s1, 0
	s_lshl_b32 s24, s6, 10
	v_mov_b32_e32 v20, v0
	s_waitcnt lgkmcnt(0)
	s_sub_i32 s26, s7, s24
	s_cmpk_gt_i32 s26, 0x3ff
	s_mov_b64 s[4:5], -1
	s_mov_b32 s32, 0
	s_cbranch_scc0 .LBB13_2
; %bb.1:
	s_ashr_i32 s25, s24, 31
	s_lshl_b64 s[18:19], s[24:25], 2
	s_add_u32 s4, s22, s18
	s_addc_u32 s5, s23, s19
	v_lshlrev_b32_e32 v25, 3, v20
	global_load_dwordx2 v[21:22], v25, s[4:5]
	global_load_dwordx2 v[23:24], v25, s[4:5] offset:2048
	s_getpc_b64 s[28:29]
	s_add_u32 s28, s28, _ZN3c104guts5applyIRZZZN2at6native12_GLOBAL__N_121bessel_j1_kernel_cudaERNS2_18TensorIteratorBaseEENKUlvE_clEvENKUlvE0_clEvEUlfE_RSt5tupleIJfEEEEDaOT_OT0_@rel32@lo+4
	s_addc_u32 s29, s29, _ZN3c104guts5applyIRZZZN2at6native12_GLOBAL__N_121bessel_j1_kernel_cudaERNS2_18TensorIteratorBaseEENKUlvE_clEvENKUlvE0_clEvEUlfE_RSt5tupleIJfEEEEDaOT_OT0_@rel32@hi+12
	s_waitcnt vmcnt(1)
	v_mov_b32_e32 v0, v21
	s_swappc_b64 s[30:31], s[28:29]
	v_mov_b32_e32 v21, v0
	v_mov_b32_e32 v0, v22
	s_swappc_b64 s[30:31], s[28:29]
	v_mov_b32_e32 v22, v0
	v_mov_b32_e32 v0, v23
	s_swappc_b64 s[30:31], s[28:29]
	v_mov_b32_e32 v23, v0
	v_mov_b32_e32 v0, v24
	s_swappc_b64 s[30:31], s[28:29]
	s_add_u32 s4, s20, s18
	s_addc_u32 s5, s21, s19
	v_mov_b32_e32 v24, v0
	global_store_dwordx2 v25, v[21:22], s[4:5]
	global_store_dwordx2 v25, v[23:24], s[4:5] offset:2048
	s_mov_b64 s[4:5], 0
.LBB13_2:
	s_andn2_b64 vcc, exec, s[4:5]
	s_cbranch_vccnz .LBB13_23
; %bb.3:
	v_cmp_gt_i32_e64 s[18:19], s26, v20
	v_mov_b32_e32 v21, 0
	v_or_b32_e32 v28, s24, v20
	v_mov_b32_e32 v0, 0
	v_mov_b32_e32 v1, v20
	s_and_saveexec_b64 s[4:5], s[18:19]
	s_cbranch_execz .LBB13_5
; %bb.4:
	v_mov_b32_e32 v29, 0
	v_lshlrev_b64 v[0:1], 2, v[28:29]
	v_mov_b32_e32 v2, s23
	v_add_co_u32_e32 v0, vcc, s22, v0
	v_addc_co_u32_e32 v1, vcc, v2, v1, vcc
	global_load_dword v0, v[0:1], off
	v_or_b32_e32 v1, 0x100, v20
.LBB13_5:
	s_or_b64 exec, exec, s[4:5]
	v_cmp_gt_i32_e32 vcc, s26, v1
	s_and_saveexec_b64 s[4:5], vcc
	s_cbranch_execz .LBB13_7
; %bb.6:
	v_add_u32_e32 v2, s24, v1
	v_mov_b32_e32 v3, 0
	v_lshlrev_b64 v[2:3], 2, v[2:3]
	v_mov_b32_e32 v4, s23
	v_add_co_u32_e32 v2, vcc, s22, v2
	v_addc_co_u32_e32 v3, vcc, v4, v3, vcc
	global_load_dword v21, v[2:3], off
	v_add_u32_e32 v1, 0x100, v1
.LBB13_7:
	s_or_b64 exec, exec, s[4:5]
	v_cmp_gt_i32_e32 vcc, s26, v1
	v_mov_b32_e32 v22, 0
	v_mov_b32_e32 v23, 0
	s_and_saveexec_b64 s[4:5], vcc
	s_cbranch_execz .LBB13_9
; %bb.8:
	v_add_u32_e32 v2, s24, v1
	v_mov_b32_e32 v3, 0
	v_lshlrev_b64 v[2:3], 2, v[2:3]
	v_mov_b32_e32 v4, s23
	v_add_co_u32_e32 v2, vcc, s22, v2
	v_addc_co_u32_e32 v3, vcc, v4, v3, vcc
	global_load_dword v23, v[2:3], off
	v_add_u32_e32 v1, 0x100, v1
.LBB13_9:
	s_or_b64 exec, exec, s[4:5]
	v_cmp_gt_i32_e32 vcc, s26, v1
	s_and_saveexec_b64 s[4:5], vcc
	s_cbranch_execz .LBB13_11
; %bb.10:
	v_add_u32_e32 v1, s24, v1
	v_mov_b32_e32 v2, 0
	v_lshlrev_b64 v[1:2], 2, v[1:2]
	v_mov_b32_e32 v3, s23
	v_add_co_u32_e32 v1, vcc, s22, v1
	v_addc_co_u32_e32 v2, vcc, v3, v2, vcc
	global_load_dword v22, v[1:2], off
.LBB13_11:
	s_or_b64 exec, exec, s[4:5]
	v_mov_b32_e32 v24, 0
	v_mov_b32_e32 v25, v24
	;; [unrolled: 1-line block ×4, first 2 shown]
	s_and_saveexec_b64 s[22:23], s[18:19]
	s_cbranch_execz .LBB13_13
; %bb.12:
	s_getpc_b64 s[4:5]
	s_add_u32 s4, s4, _ZN3c104guts5applyIRZZZN2at6native12_GLOBAL__N_121bessel_j1_kernel_cudaERNS2_18TensorIteratorBaseEENKUlvE_clEvENKUlvE0_clEvEUlfE_RSt5tupleIJfEEEEDaOT_OT0_@rel32@lo+4
	s_addc_u32 s5, s5, _ZN3c104guts5applyIRZZZN2at6native12_GLOBAL__N_121bessel_j1_kernel_cudaERNS2_18TensorIteratorBaseEENKUlvE_clEvENKUlvE0_clEvEUlfE_RSt5tupleIJfEEEEDaOT_OT0_@rel32@hi+12
	s_swappc_b64 s[30:31], s[4:5]
	v_mov_b32_e32 v3, v24
	v_mov_b32_e32 v1, v24
	v_mov_b32_e32 v2, v24
	v_mov_b32_e32 v27, v3
	v_mov_b32_e32 v26, v2
	v_mov_b32_e32 v25, v1
	v_mov_b32_e32 v24, v0
.LBB13_13:
	s_or_b64 exec, exec, s[22:23]
	v_or_b32_e32 v30, 0x100, v20
	v_cmp_gt_i32_e32 vcc, s26, v30
	s_and_saveexec_b64 s[22:23], vcc
	s_cbranch_execz .LBB13_15
; %bb.14:
	s_getpc_b64 s[4:5]
	s_add_u32 s4, s4, _ZN3c104guts5applyIRZZZN2at6native12_GLOBAL__N_121bessel_j1_kernel_cudaERNS2_18TensorIteratorBaseEENKUlvE_clEvENKUlvE0_clEvEUlfE_RSt5tupleIJfEEEEDaOT_OT0_@rel32@lo+4
	s_addc_u32 s5, s5, _ZN3c104guts5applyIRZZZN2at6native12_GLOBAL__N_121bessel_j1_kernel_cudaERNS2_18TensorIteratorBaseEENKUlvE_clEvENKUlvE0_clEvEUlfE_RSt5tupleIJfEEEEDaOT_OT0_@rel32@hi+12
	s_waitcnt vmcnt(0)
	v_mov_b32_e32 v0, v21
	s_swappc_b64 s[30:31], s[4:5]
	v_mov_b32_e32 v25, v0
.LBB13_15:
	s_or_b64 exec, exec, s[22:23]
	s_waitcnt vmcnt(0)
	v_or_b32_e32 v0, 0x200, v20
	v_cmp_gt_i32_e32 vcc, s26, v0
	s_and_saveexec_b64 s[22:23], vcc
	s_cbranch_execz .LBB13_17
; %bb.16:
	s_getpc_b64 s[4:5]
	s_add_u32 s4, s4, _ZN3c104guts5applyIRZZZN2at6native12_GLOBAL__N_121bessel_j1_kernel_cudaERNS2_18TensorIteratorBaseEENKUlvE_clEvENKUlvE0_clEvEUlfE_RSt5tupleIJfEEEEDaOT_OT0_@rel32@lo+4
	s_addc_u32 s5, s5, _ZN3c104guts5applyIRZZZN2at6native12_GLOBAL__N_121bessel_j1_kernel_cudaERNS2_18TensorIteratorBaseEENKUlvE_clEvENKUlvE0_clEvEUlfE_RSt5tupleIJfEEEEDaOT_OT0_@rel32@hi+12
	v_mov_b32_e32 v0, v23
	s_swappc_b64 s[30:31], s[4:5]
	v_mov_b32_e32 v26, v0
.LBB13_17:
	s_or_b64 exec, exec, s[22:23]
	v_or_b32_e32 v0, 0x300, v20
	v_cmp_gt_i32_e32 vcc, s26, v0
	s_and_saveexec_b64 s[22:23], vcc
	s_cbranch_execnz .LBB13_24
; %bb.18:
	s_or_b64 exec, exec, s[22:23]
	s_and_saveexec_b64 s[4:5], s[18:19]
	s_xor_b64 s[4:5], exec, s[4:5]
	s_cbranch_execnz .LBB13_25
.LBB13_19:
	s_or_b64 exec, exec, s[4:5]
	v_cmp_gt_i32_e32 vcc, s26, v20
	s_and_saveexec_b64 s[4:5], vcc
	s_cbranch_execnz .LBB13_26
.LBB13_20:
	s_or_b64 exec, exec, s[4:5]
	v_cmp_gt_i32_e32 vcc, s26, v20
	s_and_saveexec_b64 s[4:5], vcc
	s_cbranch_execnz .LBB13_27
.LBB13_21:
	s_or_b64 exec, exec, s[4:5]
	v_cmp_gt_i32_e32 vcc, s26, v20
	s_and_saveexec_b64 s[4:5], vcc
	s_cbranch_execz .LBB13_23
.LBB13_22:
	v_add_u32_e32 v0, s24, v20
	v_mov_b32_e32 v1, 0
	v_lshlrev_b64 v[0:1], 2, v[0:1]
	v_mov_b32_e32 v2, s21
	v_add_co_u32_e32 v0, vcc, s20, v0
	v_addc_co_u32_e32 v1, vcc, v2, v1, vcc
	global_store_dword v[0:1], v27, off
.LBB13_23:
	s_endpgm
.LBB13_24:
	s_getpc_b64 s[4:5]
	s_add_u32 s4, s4, _ZN3c104guts5applyIRZZZN2at6native12_GLOBAL__N_121bessel_j1_kernel_cudaERNS2_18TensorIteratorBaseEENKUlvE_clEvENKUlvE0_clEvEUlfE_RSt5tupleIJfEEEEDaOT_OT0_@rel32@lo+4
	s_addc_u32 s5, s5, _ZN3c104guts5applyIRZZZN2at6native12_GLOBAL__N_121bessel_j1_kernel_cudaERNS2_18TensorIteratorBaseEENKUlvE_clEvENKUlvE0_clEvEUlfE_RSt5tupleIJfEEEEDaOT_OT0_@rel32@hi+12
	v_mov_b32_e32 v0, v22
	s_swappc_b64 s[30:31], s[4:5]
	v_mov_b32_e32 v27, v0
	s_or_b64 exec, exec, s[22:23]
	s_and_saveexec_b64 s[4:5], s[18:19]
	s_xor_b64 s[4:5], exec, s[4:5]
	s_cbranch_execz .LBB13_19
.LBB13_25:
	v_mov_b32_e32 v29, 0
	v_lshlrev_b64 v[0:1], 2, v[28:29]
	v_mov_b32_e32 v2, s21
	v_add_co_u32_e32 v0, vcc, s20, v0
	v_addc_co_u32_e32 v1, vcc, v2, v1, vcc
	v_mov_b32_e32 v20, v30
	global_store_dword v[0:1], v24, off
	s_or_b64 exec, exec, s[4:5]
	v_cmp_gt_i32_e32 vcc, s26, v20
	s_and_saveexec_b64 s[4:5], vcc
	s_cbranch_execz .LBB13_20
.LBB13_26:
	v_add_u32_e32 v0, s24, v20
	v_mov_b32_e32 v1, 0
	v_lshlrev_b64 v[0:1], 2, v[0:1]
	v_mov_b32_e32 v2, s21
	v_add_co_u32_e32 v0, vcc, s20, v0
	v_addc_co_u32_e32 v1, vcc, v2, v1, vcc
	v_add_u32_e32 v20, 0x100, v20
	global_store_dword v[0:1], v25, off
	s_or_b64 exec, exec, s[4:5]
	v_cmp_gt_i32_e32 vcc, s26, v20
	s_and_saveexec_b64 s[4:5], vcc
	s_cbranch_execz .LBB13_21
.LBB13_27:
	v_add_u32_e32 v0, s24, v20
	v_mov_b32_e32 v1, 0
	v_lshlrev_b64 v[0:1], 2, v[0:1]
	v_mov_b32_e32 v2, s21
	v_add_co_u32_e32 v0, vcc, s20, v0
	v_addc_co_u32_e32 v1, vcc, v2, v1, vcc
	v_add_u32_e32 v20, 0x100, v20
	global_store_dword v[0:1], v26, off
	s_or_b64 exec, exec, s[4:5]
	v_cmp_gt_i32_e32 vcc, s26, v20
	s_and_saveexec_b64 s[4:5], vcc
	s_cbranch_execnz .LBB13_22
	s_branch .LBB13_23
	.section	.rodata,"a",@progbits
	.p2align	6, 0x0
	.amdhsa_kernel _ZN2at6native29vectorized_elementwise_kernelILi2EZZZNS0_12_GLOBAL__N_121bessel_j1_kernel_cudaERNS_18TensorIteratorBaseEENKUlvE_clEvENKUlvE0_clEvEUlfE_St5arrayIPcLm2EEEEviT0_T1_
		.amdhsa_group_segment_fixed_size 0
		.amdhsa_private_segment_fixed_size 0
		.amdhsa_kernarg_size 24
		.amdhsa_user_sgpr_count 6
		.amdhsa_user_sgpr_private_segment_buffer 1
		.amdhsa_user_sgpr_dispatch_ptr 0
		.amdhsa_user_sgpr_queue_ptr 0
		.amdhsa_user_sgpr_kernarg_segment_ptr 1
		.amdhsa_user_sgpr_dispatch_id 0
		.amdhsa_user_sgpr_flat_scratch_init 0
		.amdhsa_user_sgpr_private_segment_size 0
		.amdhsa_uses_dynamic_stack 0
		.amdhsa_system_sgpr_private_segment_wavefront_offset 0
		.amdhsa_system_sgpr_workgroup_id_x 1
		.amdhsa_system_sgpr_workgroup_id_y 0
		.amdhsa_system_sgpr_workgroup_id_z 0
		.amdhsa_system_sgpr_workgroup_info 0
		.amdhsa_system_vgpr_workitem_id 0
		.amdhsa_next_free_vgpr 31
		.amdhsa_next_free_sgpr 33
		.amdhsa_reserve_vcc 1
		.amdhsa_reserve_flat_scratch 0
		.amdhsa_float_round_mode_32 0
		.amdhsa_float_round_mode_16_64 0
		.amdhsa_float_denorm_mode_32 3
		.amdhsa_float_denorm_mode_16_64 3
		.amdhsa_dx10_clamp 1
		.amdhsa_ieee_mode 1
		.amdhsa_fp16_overflow 0
		.amdhsa_exception_fp_ieee_invalid_op 0
		.amdhsa_exception_fp_denorm_src 0
		.amdhsa_exception_fp_ieee_div_zero 0
		.amdhsa_exception_fp_ieee_overflow 0
		.amdhsa_exception_fp_ieee_underflow 0
		.amdhsa_exception_fp_ieee_inexact 0
		.amdhsa_exception_int_div_zero 0
	.end_amdhsa_kernel
	.section	.text._ZN2at6native29vectorized_elementwise_kernelILi2EZZZNS0_12_GLOBAL__N_121bessel_j1_kernel_cudaERNS_18TensorIteratorBaseEENKUlvE_clEvENKUlvE0_clEvEUlfE_St5arrayIPcLm2EEEEviT0_T1_,"axG",@progbits,_ZN2at6native29vectorized_elementwise_kernelILi2EZZZNS0_12_GLOBAL__N_121bessel_j1_kernel_cudaERNS_18TensorIteratorBaseEENKUlvE_clEvENKUlvE0_clEvEUlfE_St5arrayIPcLm2EEEEviT0_T1_,comdat
.Lfunc_end13:
	.size	_ZN2at6native29vectorized_elementwise_kernelILi2EZZZNS0_12_GLOBAL__N_121bessel_j1_kernel_cudaERNS_18TensorIteratorBaseEENKUlvE_clEvENKUlvE0_clEvEUlfE_St5arrayIPcLm2EEEEviT0_T1_, .Lfunc_end13-_ZN2at6native29vectorized_elementwise_kernelILi2EZZZNS0_12_GLOBAL__N_121bessel_j1_kernel_cudaERNS_18TensorIteratorBaseEENKUlvE_clEvENKUlvE0_clEvEUlfE_St5arrayIPcLm2EEEEviT0_T1_
                                        ; -- End function
	.set _ZN2at6native29vectorized_elementwise_kernelILi2EZZZNS0_12_GLOBAL__N_121bessel_j1_kernel_cudaERNS_18TensorIteratorBaseEENKUlvE_clEvENKUlvE0_clEvEUlfE_St5arrayIPcLm2EEEEviT0_T1_.num_vgpr, max(31, .L_ZN3c104guts5applyIRZZZN2at6native12_GLOBAL__N_121bessel_j1_kernel_cudaERNS2_18TensorIteratorBaseEENKUlvE_clEvENKUlvE0_clEvEUlfE_RSt5tupleIJfEEEEDaOT_OT0_.num_vgpr)
	.set _ZN2at6native29vectorized_elementwise_kernelILi2EZZZNS0_12_GLOBAL__N_121bessel_j1_kernel_cudaERNS_18TensorIteratorBaseEENKUlvE_clEvENKUlvE0_clEvEUlfE_St5arrayIPcLm2EEEEviT0_T1_.num_agpr, max(0, .L_ZN3c104guts5applyIRZZZN2at6native12_GLOBAL__N_121bessel_j1_kernel_cudaERNS2_18TensorIteratorBaseEENKUlvE_clEvENKUlvE0_clEvEUlfE_RSt5tupleIJfEEEEDaOT_OT0_.num_agpr)
	.set _ZN2at6native29vectorized_elementwise_kernelILi2EZZZNS0_12_GLOBAL__N_121bessel_j1_kernel_cudaERNS_18TensorIteratorBaseEENKUlvE_clEvENKUlvE0_clEvEUlfE_St5arrayIPcLm2EEEEviT0_T1_.numbered_sgpr, max(33, .L_ZN3c104guts5applyIRZZZN2at6native12_GLOBAL__N_121bessel_j1_kernel_cudaERNS2_18TensorIteratorBaseEENKUlvE_clEvENKUlvE0_clEvEUlfE_RSt5tupleIJfEEEEDaOT_OT0_.numbered_sgpr)
	.set _ZN2at6native29vectorized_elementwise_kernelILi2EZZZNS0_12_GLOBAL__N_121bessel_j1_kernel_cudaERNS_18TensorIteratorBaseEENKUlvE_clEvENKUlvE0_clEvEUlfE_St5arrayIPcLm2EEEEviT0_T1_.num_named_barrier, max(0, .L_ZN3c104guts5applyIRZZZN2at6native12_GLOBAL__N_121bessel_j1_kernel_cudaERNS2_18TensorIteratorBaseEENKUlvE_clEvENKUlvE0_clEvEUlfE_RSt5tupleIJfEEEEDaOT_OT0_.num_named_barrier)
	.set _ZN2at6native29vectorized_elementwise_kernelILi2EZZZNS0_12_GLOBAL__N_121bessel_j1_kernel_cudaERNS_18TensorIteratorBaseEENKUlvE_clEvENKUlvE0_clEvEUlfE_St5arrayIPcLm2EEEEviT0_T1_.private_seg_size, 0+max(.L_ZN3c104guts5applyIRZZZN2at6native12_GLOBAL__N_121bessel_j1_kernel_cudaERNS2_18TensorIteratorBaseEENKUlvE_clEvENKUlvE0_clEvEUlfE_RSt5tupleIJfEEEEDaOT_OT0_.private_seg_size)
	.set _ZN2at6native29vectorized_elementwise_kernelILi2EZZZNS0_12_GLOBAL__N_121bessel_j1_kernel_cudaERNS_18TensorIteratorBaseEENKUlvE_clEvENKUlvE0_clEvEUlfE_St5arrayIPcLm2EEEEviT0_T1_.uses_vcc, or(1, .L_ZN3c104guts5applyIRZZZN2at6native12_GLOBAL__N_121bessel_j1_kernel_cudaERNS2_18TensorIteratorBaseEENKUlvE_clEvENKUlvE0_clEvEUlfE_RSt5tupleIJfEEEEDaOT_OT0_.uses_vcc)
	.set _ZN2at6native29vectorized_elementwise_kernelILi2EZZZNS0_12_GLOBAL__N_121bessel_j1_kernel_cudaERNS_18TensorIteratorBaseEENKUlvE_clEvENKUlvE0_clEvEUlfE_St5arrayIPcLm2EEEEviT0_T1_.uses_flat_scratch, or(0, .L_ZN3c104guts5applyIRZZZN2at6native12_GLOBAL__N_121bessel_j1_kernel_cudaERNS2_18TensorIteratorBaseEENKUlvE_clEvENKUlvE0_clEvEUlfE_RSt5tupleIJfEEEEDaOT_OT0_.uses_flat_scratch)
	.set _ZN2at6native29vectorized_elementwise_kernelILi2EZZZNS0_12_GLOBAL__N_121bessel_j1_kernel_cudaERNS_18TensorIteratorBaseEENKUlvE_clEvENKUlvE0_clEvEUlfE_St5arrayIPcLm2EEEEviT0_T1_.has_dyn_sized_stack, or(0, .L_ZN3c104guts5applyIRZZZN2at6native12_GLOBAL__N_121bessel_j1_kernel_cudaERNS2_18TensorIteratorBaseEENKUlvE_clEvENKUlvE0_clEvEUlfE_RSt5tupleIJfEEEEDaOT_OT0_.has_dyn_sized_stack)
	.set _ZN2at6native29vectorized_elementwise_kernelILi2EZZZNS0_12_GLOBAL__N_121bessel_j1_kernel_cudaERNS_18TensorIteratorBaseEENKUlvE_clEvENKUlvE0_clEvEUlfE_St5arrayIPcLm2EEEEviT0_T1_.has_recursion, or(0, .L_ZN3c104guts5applyIRZZZN2at6native12_GLOBAL__N_121bessel_j1_kernel_cudaERNS2_18TensorIteratorBaseEENKUlvE_clEvENKUlvE0_clEvEUlfE_RSt5tupleIJfEEEEDaOT_OT0_.has_recursion)
	.set _ZN2at6native29vectorized_elementwise_kernelILi2EZZZNS0_12_GLOBAL__N_121bessel_j1_kernel_cudaERNS_18TensorIteratorBaseEENKUlvE_clEvENKUlvE0_clEvEUlfE_St5arrayIPcLm2EEEEviT0_T1_.has_indirect_call, or(0, .L_ZN3c104guts5applyIRZZZN2at6native12_GLOBAL__N_121bessel_j1_kernel_cudaERNS2_18TensorIteratorBaseEENKUlvE_clEvENKUlvE0_clEvEUlfE_RSt5tupleIJfEEEEDaOT_OT0_.has_indirect_call)
	.section	.AMDGPU.csdata,"",@progbits
; Kernel info:
; codeLenInByte = 1004
; TotalNumSgprs: 37
; NumVgprs: 31
; ScratchSize: 0
; MemoryBound: 0
; FloatMode: 240
; IeeeMode: 1
; LDSByteSize: 0 bytes/workgroup (compile time only)
; SGPRBlocks: 4
; VGPRBlocks: 7
; NumSGPRsForWavesPerEU: 37
; NumVGPRsForWavesPerEU: 31
; Occupancy: 8
; WaveLimiterHint : 1
; COMPUTE_PGM_RSRC2:SCRATCH_EN: 0
; COMPUTE_PGM_RSRC2:USER_SGPR: 6
; COMPUTE_PGM_RSRC2:TRAP_HANDLER: 0
; COMPUTE_PGM_RSRC2:TGID_X_EN: 1
; COMPUTE_PGM_RSRC2:TGID_Y_EN: 0
; COMPUTE_PGM_RSRC2:TGID_Z_EN: 0
; COMPUTE_PGM_RSRC2:TIDIG_COMP_CNT: 0
	.section	.text._ZN2at6native27unrolled_elementwise_kernelIZZZNS0_12_GLOBAL__N_121bessel_j1_kernel_cudaERNS_18TensorIteratorBaseEENKUlvE_clEvENKUlvE0_clEvEUlfE_St5arrayIPcLm2EELi4E23TrivialOffsetCalculatorILi1EjESC_NS0_6memory15LoadWithoutCastENSD_16StoreWithoutCastEEEviT_T0_T2_T3_T4_T5_,"axG",@progbits,_ZN2at6native27unrolled_elementwise_kernelIZZZNS0_12_GLOBAL__N_121bessel_j1_kernel_cudaERNS_18TensorIteratorBaseEENKUlvE_clEvENKUlvE0_clEvEUlfE_St5arrayIPcLm2EELi4E23TrivialOffsetCalculatorILi1EjESC_NS0_6memory15LoadWithoutCastENSD_16StoreWithoutCastEEEviT_T0_T2_T3_T4_T5_,comdat
	.globl	_ZN2at6native27unrolled_elementwise_kernelIZZZNS0_12_GLOBAL__N_121bessel_j1_kernel_cudaERNS_18TensorIteratorBaseEENKUlvE_clEvENKUlvE0_clEvEUlfE_St5arrayIPcLm2EELi4E23TrivialOffsetCalculatorILi1EjESC_NS0_6memory15LoadWithoutCastENSD_16StoreWithoutCastEEEviT_T0_T2_T3_T4_T5_ ; -- Begin function _ZN2at6native27unrolled_elementwise_kernelIZZZNS0_12_GLOBAL__N_121bessel_j1_kernel_cudaERNS_18TensorIteratorBaseEENKUlvE_clEvENKUlvE0_clEvEUlfE_St5arrayIPcLm2EELi4E23TrivialOffsetCalculatorILi1EjESC_NS0_6memory15LoadWithoutCastENSD_16StoreWithoutCastEEEviT_T0_T2_T3_T4_T5_
	.p2align	8
	.type	_ZN2at6native27unrolled_elementwise_kernelIZZZNS0_12_GLOBAL__N_121bessel_j1_kernel_cudaERNS_18TensorIteratorBaseEENKUlvE_clEvENKUlvE0_clEvEUlfE_St5arrayIPcLm2EELi4E23TrivialOffsetCalculatorILi1EjESC_NS0_6memory15LoadWithoutCastENSD_16StoreWithoutCastEEEviT_T0_T2_T3_T4_T5_,@function
_ZN2at6native27unrolled_elementwise_kernelIZZZNS0_12_GLOBAL__N_121bessel_j1_kernel_cudaERNS_18TensorIteratorBaseEENKUlvE_clEvENKUlvE0_clEvEUlfE_St5arrayIPcLm2EELi4E23TrivialOffsetCalculatorILi1EjESC_NS0_6memory15LoadWithoutCastENSD_16StoreWithoutCastEEEviT_T0_T2_T3_T4_T5_: ; @_ZN2at6native27unrolled_elementwise_kernelIZZZNS0_12_GLOBAL__N_121bessel_j1_kernel_cudaERNS_18TensorIteratorBaseEENKUlvE_clEvENKUlvE0_clEvEUlfE_St5arrayIPcLm2EELi4E23TrivialOffsetCalculatorILi1EjESC_NS0_6memory15LoadWithoutCastENSD_16StoreWithoutCastEEEviT_T0_T2_T3_T4_T5_
; %bb.0:
	s_add_u32 s0, s0, s7
	s_load_dword s7, s[4:5], 0x0
	s_load_dwordx4 s[20:23], s[4:5], 0x8
	s_addc_u32 s1, s1, 0
	s_lshl_b32 s24, s6, 10
	v_mov_b32_e32 v20, v0
	s_waitcnt lgkmcnt(0)
	s_sub_i32 s25, s7, s24
	v_cmp_gt_i32_e64 s[18:19], s25, v20
	v_mov_b32_e32 v21, 0
	v_or_b32_e32 v28, s24, v20
	v_mov_b32_e32 v0, 0
	v_mov_b32_e32 v1, v20
	s_mov_b32 s32, 0
	s_and_saveexec_b64 s[4:5], s[18:19]
	s_cbranch_execz .LBB14_2
; %bb.1:
	v_mov_b32_e32 v29, 0
	v_lshlrev_b64 v[0:1], 2, v[28:29]
	v_mov_b32_e32 v2, s23
	v_add_co_u32_e32 v0, vcc, s22, v0
	v_addc_co_u32_e32 v1, vcc, v2, v1, vcc
	global_load_dword v0, v[0:1], off
	v_or_b32_e32 v1, 0x100, v20
.LBB14_2:
	s_or_b64 exec, exec, s[4:5]
	v_cmp_gt_i32_e32 vcc, s25, v1
	s_and_saveexec_b64 s[4:5], vcc
	s_cbranch_execz .LBB14_4
; %bb.3:
	v_add_u32_e32 v2, s24, v1
	v_mov_b32_e32 v3, 0
	v_lshlrev_b64 v[2:3], 2, v[2:3]
	v_mov_b32_e32 v4, s23
	v_add_co_u32_e32 v2, vcc, s22, v2
	v_addc_co_u32_e32 v3, vcc, v4, v3, vcc
	global_load_dword v21, v[2:3], off
	v_add_u32_e32 v1, 0x100, v1
.LBB14_4:
	s_or_b64 exec, exec, s[4:5]
	v_cmp_gt_i32_e32 vcc, s25, v1
	v_mov_b32_e32 v22, 0
	v_mov_b32_e32 v23, 0
	s_and_saveexec_b64 s[4:5], vcc
	s_cbranch_execz .LBB14_6
; %bb.5:
	v_add_u32_e32 v2, s24, v1
	v_mov_b32_e32 v3, 0
	v_lshlrev_b64 v[2:3], 2, v[2:3]
	v_mov_b32_e32 v4, s23
	v_add_co_u32_e32 v2, vcc, s22, v2
	v_addc_co_u32_e32 v3, vcc, v4, v3, vcc
	global_load_dword v23, v[2:3], off
	v_add_u32_e32 v1, 0x100, v1
.LBB14_6:
	s_or_b64 exec, exec, s[4:5]
	v_cmp_gt_i32_e32 vcc, s25, v1
	s_and_saveexec_b64 s[4:5], vcc
	s_cbranch_execz .LBB14_8
; %bb.7:
	v_add_u32_e32 v1, s24, v1
	v_mov_b32_e32 v2, 0
	v_lshlrev_b64 v[1:2], 2, v[1:2]
	v_mov_b32_e32 v3, s23
	v_add_co_u32_e32 v1, vcc, s22, v1
	v_addc_co_u32_e32 v2, vcc, v3, v2, vcc
	global_load_dword v22, v[1:2], off
.LBB14_8:
	s_or_b64 exec, exec, s[4:5]
	v_mov_b32_e32 v24, 0
	v_mov_b32_e32 v25, v24
	;; [unrolled: 1-line block ×4, first 2 shown]
	s_and_saveexec_b64 s[22:23], s[18:19]
	s_cbranch_execz .LBB14_10
; %bb.9:
	s_getpc_b64 s[4:5]
	s_add_u32 s4, s4, _ZN3c104guts5applyIRZZZN2at6native12_GLOBAL__N_121bessel_j1_kernel_cudaERNS2_18TensorIteratorBaseEENKUlvE_clEvENKUlvE0_clEvEUlfE_RSt5tupleIJfEEEEDaOT_OT0_@rel32@lo+4
	s_addc_u32 s5, s5, _ZN3c104guts5applyIRZZZN2at6native12_GLOBAL__N_121bessel_j1_kernel_cudaERNS2_18TensorIteratorBaseEENKUlvE_clEvENKUlvE0_clEvEUlfE_RSt5tupleIJfEEEEDaOT_OT0_@rel32@hi+12
	s_swappc_b64 s[30:31], s[4:5]
	v_mov_b32_e32 v3, v24
	v_mov_b32_e32 v1, v24
	v_mov_b32_e32 v2, v24
	v_mov_b32_e32 v27, v3
	v_mov_b32_e32 v26, v2
	v_mov_b32_e32 v25, v1
	v_mov_b32_e32 v24, v0
.LBB14_10:
	s_or_b64 exec, exec, s[22:23]
	v_or_b32_e32 v30, 0x100, v20
	v_cmp_gt_i32_e32 vcc, s25, v30
	s_and_saveexec_b64 s[22:23], vcc
	s_cbranch_execz .LBB14_12
; %bb.11:
	s_getpc_b64 s[4:5]
	s_add_u32 s4, s4, _ZN3c104guts5applyIRZZZN2at6native12_GLOBAL__N_121bessel_j1_kernel_cudaERNS2_18TensorIteratorBaseEENKUlvE_clEvENKUlvE0_clEvEUlfE_RSt5tupleIJfEEEEDaOT_OT0_@rel32@lo+4
	s_addc_u32 s5, s5, _ZN3c104guts5applyIRZZZN2at6native12_GLOBAL__N_121bessel_j1_kernel_cudaERNS2_18TensorIteratorBaseEENKUlvE_clEvENKUlvE0_clEvEUlfE_RSt5tupleIJfEEEEDaOT_OT0_@rel32@hi+12
	s_waitcnt vmcnt(0)
	v_mov_b32_e32 v0, v21
	s_swappc_b64 s[30:31], s[4:5]
	v_mov_b32_e32 v25, v0
.LBB14_12:
	s_or_b64 exec, exec, s[22:23]
	s_waitcnt vmcnt(0)
	v_or_b32_e32 v0, 0x200, v20
	v_cmp_gt_i32_e32 vcc, s25, v0
	s_and_saveexec_b64 s[22:23], vcc
	s_cbranch_execz .LBB14_14
; %bb.13:
	s_getpc_b64 s[4:5]
	s_add_u32 s4, s4, _ZN3c104guts5applyIRZZZN2at6native12_GLOBAL__N_121bessel_j1_kernel_cudaERNS2_18TensorIteratorBaseEENKUlvE_clEvENKUlvE0_clEvEUlfE_RSt5tupleIJfEEEEDaOT_OT0_@rel32@lo+4
	s_addc_u32 s5, s5, _ZN3c104guts5applyIRZZZN2at6native12_GLOBAL__N_121bessel_j1_kernel_cudaERNS2_18TensorIteratorBaseEENKUlvE_clEvENKUlvE0_clEvEUlfE_RSt5tupleIJfEEEEDaOT_OT0_@rel32@hi+12
	v_mov_b32_e32 v0, v23
	s_swappc_b64 s[30:31], s[4:5]
	v_mov_b32_e32 v26, v0
.LBB14_14:
	s_or_b64 exec, exec, s[22:23]
	v_or_b32_e32 v0, 0x300, v20
	v_cmp_gt_i32_e32 vcc, s25, v0
	s_and_saveexec_b64 s[22:23], vcc
	s_cbranch_execnz .LBB14_20
; %bb.15:
	s_or_b64 exec, exec, s[22:23]
	s_and_saveexec_b64 s[4:5], s[18:19]
	s_xor_b64 s[4:5], exec, s[4:5]
	s_cbranch_execnz .LBB14_21
.LBB14_16:
	s_or_b64 exec, exec, s[4:5]
	v_cmp_gt_i32_e32 vcc, s25, v20
	s_and_saveexec_b64 s[4:5], vcc
	s_cbranch_execnz .LBB14_22
.LBB14_17:
	s_or_b64 exec, exec, s[4:5]
	v_cmp_gt_i32_e32 vcc, s25, v20
	s_and_saveexec_b64 s[4:5], vcc
	s_cbranch_execnz .LBB14_23
.LBB14_18:
	s_or_b64 exec, exec, s[4:5]
	v_cmp_gt_i32_e32 vcc, s25, v20
	s_and_saveexec_b64 s[4:5], vcc
	s_cbranch_execnz .LBB14_24
.LBB14_19:
	s_endpgm
.LBB14_20:
	s_getpc_b64 s[4:5]
	s_add_u32 s4, s4, _ZN3c104guts5applyIRZZZN2at6native12_GLOBAL__N_121bessel_j1_kernel_cudaERNS2_18TensorIteratorBaseEENKUlvE_clEvENKUlvE0_clEvEUlfE_RSt5tupleIJfEEEEDaOT_OT0_@rel32@lo+4
	s_addc_u32 s5, s5, _ZN3c104guts5applyIRZZZN2at6native12_GLOBAL__N_121bessel_j1_kernel_cudaERNS2_18TensorIteratorBaseEENKUlvE_clEvENKUlvE0_clEvEUlfE_RSt5tupleIJfEEEEDaOT_OT0_@rel32@hi+12
	v_mov_b32_e32 v0, v22
	s_swappc_b64 s[30:31], s[4:5]
	v_mov_b32_e32 v27, v0
	s_or_b64 exec, exec, s[22:23]
	s_and_saveexec_b64 s[4:5], s[18:19]
	s_xor_b64 s[4:5], exec, s[4:5]
	s_cbranch_execz .LBB14_16
.LBB14_21:
	v_mov_b32_e32 v29, 0
	v_lshlrev_b64 v[0:1], 2, v[28:29]
	v_mov_b32_e32 v2, s21
	v_add_co_u32_e32 v0, vcc, s20, v0
	v_addc_co_u32_e32 v1, vcc, v2, v1, vcc
	v_mov_b32_e32 v20, v30
	global_store_dword v[0:1], v24, off
	s_or_b64 exec, exec, s[4:5]
	v_cmp_gt_i32_e32 vcc, s25, v20
	s_and_saveexec_b64 s[4:5], vcc
	s_cbranch_execz .LBB14_17
.LBB14_22:
	v_add_u32_e32 v0, s24, v20
	v_mov_b32_e32 v1, 0
	v_lshlrev_b64 v[0:1], 2, v[0:1]
	v_add_u32_e32 v2, 0x100, v20
	v_mov_b32_e32 v3, s21
	v_add_co_u32_e32 v0, vcc, s20, v0
	v_addc_co_u32_e32 v1, vcc, v3, v1, vcc
	v_mov_b32_e32 v20, v2
	global_store_dword v[0:1], v25, off
	s_or_b64 exec, exec, s[4:5]
	v_cmp_gt_i32_e32 vcc, s25, v20
	s_and_saveexec_b64 s[4:5], vcc
	s_cbranch_execz .LBB14_18
.LBB14_23:
	v_add_u32_e32 v0, s24, v20
	v_mov_b32_e32 v1, 0
	v_lshlrev_b64 v[0:1], 2, v[0:1]
	v_add_u32_e32 v2, 0x100, v20
	v_mov_b32_e32 v3, s21
	v_add_co_u32_e32 v0, vcc, s20, v0
	v_addc_co_u32_e32 v1, vcc, v3, v1, vcc
	v_mov_b32_e32 v20, v2
	global_store_dword v[0:1], v26, off
	s_or_b64 exec, exec, s[4:5]
	v_cmp_gt_i32_e32 vcc, s25, v20
	s_and_saveexec_b64 s[4:5], vcc
	s_cbranch_execz .LBB14_19
.LBB14_24:
	v_add_u32_e32 v0, s24, v20
	v_mov_b32_e32 v1, 0
	v_lshlrev_b64 v[0:1], 2, v[0:1]
	v_mov_b32_e32 v2, s21
	v_add_co_u32_e32 v0, vcc, s20, v0
	v_addc_co_u32_e32 v1, vcc, v2, v1, vcc
	global_store_dword v[0:1], v27, off
	s_endpgm
	.section	.rodata,"a",@progbits
	.p2align	6, 0x0
	.amdhsa_kernel _ZN2at6native27unrolled_elementwise_kernelIZZZNS0_12_GLOBAL__N_121bessel_j1_kernel_cudaERNS_18TensorIteratorBaseEENKUlvE_clEvENKUlvE0_clEvEUlfE_St5arrayIPcLm2EELi4E23TrivialOffsetCalculatorILi1EjESC_NS0_6memory15LoadWithoutCastENSD_16StoreWithoutCastEEEviT_T0_T2_T3_T4_T5_
		.amdhsa_group_segment_fixed_size 0
		.amdhsa_private_segment_fixed_size 0
		.amdhsa_kernarg_size 28
		.amdhsa_user_sgpr_count 6
		.amdhsa_user_sgpr_private_segment_buffer 1
		.amdhsa_user_sgpr_dispatch_ptr 0
		.amdhsa_user_sgpr_queue_ptr 0
		.amdhsa_user_sgpr_kernarg_segment_ptr 1
		.amdhsa_user_sgpr_dispatch_id 0
		.amdhsa_user_sgpr_flat_scratch_init 0
		.amdhsa_user_sgpr_private_segment_size 0
		.amdhsa_uses_dynamic_stack 0
		.amdhsa_system_sgpr_private_segment_wavefront_offset 0
		.amdhsa_system_sgpr_workgroup_id_x 1
		.amdhsa_system_sgpr_workgroup_id_y 0
		.amdhsa_system_sgpr_workgroup_id_z 0
		.amdhsa_system_sgpr_workgroup_info 0
		.amdhsa_system_vgpr_workitem_id 0
		.amdhsa_next_free_vgpr 31
		.amdhsa_next_free_sgpr 33
		.amdhsa_reserve_vcc 1
		.amdhsa_reserve_flat_scratch 0
		.amdhsa_float_round_mode_32 0
		.amdhsa_float_round_mode_16_64 0
		.amdhsa_float_denorm_mode_32 3
		.amdhsa_float_denorm_mode_16_64 3
		.amdhsa_dx10_clamp 1
		.amdhsa_ieee_mode 1
		.amdhsa_fp16_overflow 0
		.amdhsa_exception_fp_ieee_invalid_op 0
		.amdhsa_exception_fp_denorm_src 0
		.amdhsa_exception_fp_ieee_div_zero 0
		.amdhsa_exception_fp_ieee_overflow 0
		.amdhsa_exception_fp_ieee_underflow 0
		.amdhsa_exception_fp_ieee_inexact 0
		.amdhsa_exception_int_div_zero 0
	.end_amdhsa_kernel
	.section	.text._ZN2at6native27unrolled_elementwise_kernelIZZZNS0_12_GLOBAL__N_121bessel_j1_kernel_cudaERNS_18TensorIteratorBaseEENKUlvE_clEvENKUlvE0_clEvEUlfE_St5arrayIPcLm2EELi4E23TrivialOffsetCalculatorILi1EjESC_NS0_6memory15LoadWithoutCastENSD_16StoreWithoutCastEEEviT_T0_T2_T3_T4_T5_,"axG",@progbits,_ZN2at6native27unrolled_elementwise_kernelIZZZNS0_12_GLOBAL__N_121bessel_j1_kernel_cudaERNS_18TensorIteratorBaseEENKUlvE_clEvENKUlvE0_clEvEUlfE_St5arrayIPcLm2EELi4E23TrivialOffsetCalculatorILi1EjESC_NS0_6memory15LoadWithoutCastENSD_16StoreWithoutCastEEEviT_T0_T2_T3_T4_T5_,comdat
.Lfunc_end14:
	.size	_ZN2at6native27unrolled_elementwise_kernelIZZZNS0_12_GLOBAL__N_121bessel_j1_kernel_cudaERNS_18TensorIteratorBaseEENKUlvE_clEvENKUlvE0_clEvEUlfE_St5arrayIPcLm2EELi4E23TrivialOffsetCalculatorILi1EjESC_NS0_6memory15LoadWithoutCastENSD_16StoreWithoutCastEEEviT_T0_T2_T3_T4_T5_, .Lfunc_end14-_ZN2at6native27unrolled_elementwise_kernelIZZZNS0_12_GLOBAL__N_121bessel_j1_kernel_cudaERNS_18TensorIteratorBaseEENKUlvE_clEvENKUlvE0_clEvEUlfE_St5arrayIPcLm2EELi4E23TrivialOffsetCalculatorILi1EjESC_NS0_6memory15LoadWithoutCastENSD_16StoreWithoutCastEEEviT_T0_T2_T3_T4_T5_
                                        ; -- End function
	.set _ZN2at6native27unrolled_elementwise_kernelIZZZNS0_12_GLOBAL__N_121bessel_j1_kernel_cudaERNS_18TensorIteratorBaseEENKUlvE_clEvENKUlvE0_clEvEUlfE_St5arrayIPcLm2EELi4E23TrivialOffsetCalculatorILi1EjESC_NS0_6memory15LoadWithoutCastENSD_16StoreWithoutCastEEEviT_T0_T2_T3_T4_T5_.num_vgpr, max(31, .L_ZN3c104guts5applyIRZZZN2at6native12_GLOBAL__N_121bessel_j1_kernel_cudaERNS2_18TensorIteratorBaseEENKUlvE_clEvENKUlvE0_clEvEUlfE_RSt5tupleIJfEEEEDaOT_OT0_.num_vgpr)
	.set _ZN2at6native27unrolled_elementwise_kernelIZZZNS0_12_GLOBAL__N_121bessel_j1_kernel_cudaERNS_18TensorIteratorBaseEENKUlvE_clEvENKUlvE0_clEvEUlfE_St5arrayIPcLm2EELi4E23TrivialOffsetCalculatorILi1EjESC_NS0_6memory15LoadWithoutCastENSD_16StoreWithoutCastEEEviT_T0_T2_T3_T4_T5_.num_agpr, max(0, .L_ZN3c104guts5applyIRZZZN2at6native12_GLOBAL__N_121bessel_j1_kernel_cudaERNS2_18TensorIteratorBaseEENKUlvE_clEvENKUlvE0_clEvEUlfE_RSt5tupleIJfEEEEDaOT_OT0_.num_agpr)
	.set _ZN2at6native27unrolled_elementwise_kernelIZZZNS0_12_GLOBAL__N_121bessel_j1_kernel_cudaERNS_18TensorIteratorBaseEENKUlvE_clEvENKUlvE0_clEvEUlfE_St5arrayIPcLm2EELi4E23TrivialOffsetCalculatorILi1EjESC_NS0_6memory15LoadWithoutCastENSD_16StoreWithoutCastEEEviT_T0_T2_T3_T4_T5_.numbered_sgpr, max(33, .L_ZN3c104guts5applyIRZZZN2at6native12_GLOBAL__N_121bessel_j1_kernel_cudaERNS2_18TensorIteratorBaseEENKUlvE_clEvENKUlvE0_clEvEUlfE_RSt5tupleIJfEEEEDaOT_OT0_.numbered_sgpr)
	.set _ZN2at6native27unrolled_elementwise_kernelIZZZNS0_12_GLOBAL__N_121bessel_j1_kernel_cudaERNS_18TensorIteratorBaseEENKUlvE_clEvENKUlvE0_clEvEUlfE_St5arrayIPcLm2EELi4E23TrivialOffsetCalculatorILi1EjESC_NS0_6memory15LoadWithoutCastENSD_16StoreWithoutCastEEEviT_T0_T2_T3_T4_T5_.num_named_barrier, max(0, .L_ZN3c104guts5applyIRZZZN2at6native12_GLOBAL__N_121bessel_j1_kernel_cudaERNS2_18TensorIteratorBaseEENKUlvE_clEvENKUlvE0_clEvEUlfE_RSt5tupleIJfEEEEDaOT_OT0_.num_named_barrier)
	.set _ZN2at6native27unrolled_elementwise_kernelIZZZNS0_12_GLOBAL__N_121bessel_j1_kernel_cudaERNS_18TensorIteratorBaseEENKUlvE_clEvENKUlvE0_clEvEUlfE_St5arrayIPcLm2EELi4E23TrivialOffsetCalculatorILi1EjESC_NS0_6memory15LoadWithoutCastENSD_16StoreWithoutCastEEEviT_T0_T2_T3_T4_T5_.private_seg_size, 0+max(.L_ZN3c104guts5applyIRZZZN2at6native12_GLOBAL__N_121bessel_j1_kernel_cudaERNS2_18TensorIteratorBaseEENKUlvE_clEvENKUlvE0_clEvEUlfE_RSt5tupleIJfEEEEDaOT_OT0_.private_seg_size)
	.set _ZN2at6native27unrolled_elementwise_kernelIZZZNS0_12_GLOBAL__N_121bessel_j1_kernel_cudaERNS_18TensorIteratorBaseEENKUlvE_clEvENKUlvE0_clEvEUlfE_St5arrayIPcLm2EELi4E23TrivialOffsetCalculatorILi1EjESC_NS0_6memory15LoadWithoutCastENSD_16StoreWithoutCastEEEviT_T0_T2_T3_T4_T5_.uses_vcc, or(1, .L_ZN3c104guts5applyIRZZZN2at6native12_GLOBAL__N_121bessel_j1_kernel_cudaERNS2_18TensorIteratorBaseEENKUlvE_clEvENKUlvE0_clEvEUlfE_RSt5tupleIJfEEEEDaOT_OT0_.uses_vcc)
	.set _ZN2at6native27unrolled_elementwise_kernelIZZZNS0_12_GLOBAL__N_121bessel_j1_kernel_cudaERNS_18TensorIteratorBaseEENKUlvE_clEvENKUlvE0_clEvEUlfE_St5arrayIPcLm2EELi4E23TrivialOffsetCalculatorILi1EjESC_NS0_6memory15LoadWithoutCastENSD_16StoreWithoutCastEEEviT_T0_T2_T3_T4_T5_.uses_flat_scratch, or(0, .L_ZN3c104guts5applyIRZZZN2at6native12_GLOBAL__N_121bessel_j1_kernel_cudaERNS2_18TensorIteratorBaseEENKUlvE_clEvENKUlvE0_clEvEUlfE_RSt5tupleIJfEEEEDaOT_OT0_.uses_flat_scratch)
	.set _ZN2at6native27unrolled_elementwise_kernelIZZZNS0_12_GLOBAL__N_121bessel_j1_kernel_cudaERNS_18TensorIteratorBaseEENKUlvE_clEvENKUlvE0_clEvEUlfE_St5arrayIPcLm2EELi4E23TrivialOffsetCalculatorILi1EjESC_NS0_6memory15LoadWithoutCastENSD_16StoreWithoutCastEEEviT_T0_T2_T3_T4_T5_.has_dyn_sized_stack, or(0, .L_ZN3c104guts5applyIRZZZN2at6native12_GLOBAL__N_121bessel_j1_kernel_cudaERNS2_18TensorIteratorBaseEENKUlvE_clEvENKUlvE0_clEvEUlfE_RSt5tupleIJfEEEEDaOT_OT0_.has_dyn_sized_stack)
	.set _ZN2at6native27unrolled_elementwise_kernelIZZZNS0_12_GLOBAL__N_121bessel_j1_kernel_cudaERNS_18TensorIteratorBaseEENKUlvE_clEvENKUlvE0_clEvEUlfE_St5arrayIPcLm2EELi4E23TrivialOffsetCalculatorILi1EjESC_NS0_6memory15LoadWithoutCastENSD_16StoreWithoutCastEEEviT_T0_T2_T3_T4_T5_.has_recursion, or(0, .L_ZN3c104guts5applyIRZZZN2at6native12_GLOBAL__N_121bessel_j1_kernel_cudaERNS2_18TensorIteratorBaseEENKUlvE_clEvENKUlvE0_clEvEUlfE_RSt5tupleIJfEEEEDaOT_OT0_.has_recursion)
	.set _ZN2at6native27unrolled_elementwise_kernelIZZZNS0_12_GLOBAL__N_121bessel_j1_kernel_cudaERNS_18TensorIteratorBaseEENKUlvE_clEvENKUlvE0_clEvEUlfE_St5arrayIPcLm2EELi4E23TrivialOffsetCalculatorILi1EjESC_NS0_6memory15LoadWithoutCastENSD_16StoreWithoutCastEEEviT_T0_T2_T3_T4_T5_.has_indirect_call, or(0, .L_ZN3c104guts5applyIRZZZN2at6native12_GLOBAL__N_121bessel_j1_kernel_cudaERNS2_18TensorIteratorBaseEENKUlvE_clEvENKUlvE0_clEvEUlfE_RSt5tupleIJfEEEEDaOT_OT0_.has_indirect_call)
	.section	.AMDGPU.csdata,"",@progbits
; Kernel info:
; codeLenInByte = 856
; TotalNumSgprs: 37
; NumVgprs: 31
; ScratchSize: 0
; MemoryBound: 0
; FloatMode: 240
; IeeeMode: 1
; LDSByteSize: 0 bytes/workgroup (compile time only)
; SGPRBlocks: 4
; VGPRBlocks: 7
; NumSGPRsForWavesPerEU: 37
; NumVGPRsForWavesPerEU: 31
; Occupancy: 8
; WaveLimiterHint : 0
; COMPUTE_PGM_RSRC2:SCRATCH_EN: 0
; COMPUTE_PGM_RSRC2:USER_SGPR: 6
; COMPUTE_PGM_RSRC2:TRAP_HANDLER: 0
; COMPUTE_PGM_RSRC2:TGID_X_EN: 1
; COMPUTE_PGM_RSRC2:TGID_Y_EN: 0
; COMPUTE_PGM_RSRC2:TGID_Z_EN: 0
; COMPUTE_PGM_RSRC2:TIDIG_COMP_CNT: 0
	.text
	.p2align	2                               ; -- Begin function _ZN2at6native6invokeIZZZNS0_12_GLOBAL__N_121bessel_j1_kernel_cudaERNS_18TensorIteratorBaseEENKUlvE_clEvENKUlvE0_clEvEUlfE_j15function_traitsIS7_EEENT1_11result_typeERKT_PrKPcPKT0_i
	.type	_ZN2at6native6invokeIZZZNS0_12_GLOBAL__N_121bessel_j1_kernel_cudaERNS_18TensorIteratorBaseEENKUlvE_clEvENKUlvE0_clEvEUlfE_j15function_traitsIS7_EEENT1_11result_typeERKT_PrKPcPKT0_i,@function
_ZN2at6native6invokeIZZZNS0_12_GLOBAL__N_121bessel_j1_kernel_cudaERNS_18TensorIteratorBaseEENKUlvE_clEvENKUlvE0_clEvEUlfE_j15function_traitsIS7_EEENT1_11result_typeERKT_PrKPcPKT0_i: ; @_ZN2at6native6invokeIZZZNS0_12_GLOBAL__N_121bessel_j1_kernel_cudaERNS_18TensorIteratorBaseEENKUlvE_clEvENKUlvE0_clEvEUlfE_j15function_traitsIS7_EEENT1_11result_typeERKT_PrKPcPKT0_i
; %bb.0:
	s_waitcnt vmcnt(0) expcnt(0) lgkmcnt(0)
	v_add_co_u32_e32 v0, vcc, v0, v2
	v_addc_co_u32_e32 v1, vcc, 0, v1, vcc
	flat_load_dword v1, v[0:1]
                                        ; implicit-def: $vgpr0
	s_waitcnt vmcnt(0) lgkmcnt(0)
	v_cmp_ngt_f32_e32 vcc, 0, v1
	s_and_saveexec_b64 s[4:5], vcc
	s_xor_b64 s[10:11], exec, s[4:5]
	s_cbranch_execz .LBB15_6
; %bb.1:
	s_mov_b32 s4, 0x40a00000
	v_cmp_ge_f32_e32 vcc, s4, v1
                                        ; implicit-def: $vgpr0
	s_and_saveexec_b64 s[4:5], vcc
	s_xor_b64 s[4:5], exec, s[4:5]
	s_cbranch_execz .LBB15_3
; %bb.2:
	v_mul_f32_e32 v0, v1, v1
	v_mov_b32_e32 v2, 0xce5691e2
	v_fmac_f32_e32 v2, 0, v0
	v_mov_b32_e32 v3, 0x52d295d0
	v_fmac_f32_e32 v3, v0, v2
	;; [unrolled: 2-line block ×12, first 2 shown]
	v_div_scale_f32 v0, s[6:7], v4, v4, v3
	v_div_scale_f32 v2, vcc, v3, v4, v3
	v_rcp_f32_e32 v5, v0
	v_fma_f32 v6, -v0, v5, 1.0
	v_fmac_f32_e32 v5, v6, v5
	v_mul_f32_e32 v6, v2, v5
	v_fma_f32 v7, -v0, v6, v2
	v_fmac_f32_e32 v6, v7, v5
	v_fma_f32 v0, -v0, v6, v2
	v_div_fmas_f32 v0, v0, v5, v6
	v_mov_b32_e32 v2, 0xc16ae95a
	v_mov_b32_e32 v5, 0xc244dfb3
	v_fmac_f32_e32 v2, v1, v1
	v_fmac_f32_e32 v5, v1, v1
	v_div_fixup_f32 v0, v0, v4, v3
	v_mul_f32_e32 v0, v1, v0
	v_mul_f32_e32 v0, v2, v0
	;; [unrolled: 1-line block ×3, first 2 shown]
                                        ; implicit-def: $vgpr1
.LBB15_3:
	s_andn2_saveexec_b64 s[12:13], s[4:5]
	s_cbranch_execz .LBB15_23
; %bb.4:
	v_add_f32_e32 v0, 0xc016cbe4, v1
	v_and_b32_e32 v2, 0x7fffffff, v0
	s_brev_b32 s4, 18
	v_cmp_nlt_f32_e64 s[14:15], |v0|, s4
	v_lshrrev_b32_e32 v7, 23, v2
                                        ; implicit-def: $vgpr3
                                        ; implicit-def: $vgpr4
	s_and_saveexec_b64 s[4:5], s[14:15]
	s_xor_b64 s[16:17], exec, s[4:5]
	s_cbranch_execz .LBB15_12
; %bb.5:
	v_and_b32_e32 v3, 0x7fffff, v2
	v_or_b32_e32 v6, 0x800000, v3
	s_mov_b32 s4, 0xfe5163ab
	v_mad_u64_u32 v[3:4], s[4:5], v6, s4, 0
	v_mov_b32_e32 v5, 0
	s_mov_b32 s4, 0x3c439041
	v_mad_u64_u32 v[8:9], s[4:5], v6, s4, v[4:5]
	s_mov_b32 s4, 0xdb629599
	v_add_u32_e32 v13, 0xffffff88, v7
	v_mov_b32_e32 v4, v9
	v_mad_u64_u32 v[9:10], s[4:5], v6, s4, v[4:5]
	s_mov_b32 s4, 0xf534ddc0
	v_not_b32_e32 v14, 63
	v_mov_b32_e32 v4, v10
	v_mad_u64_u32 v[10:11], s[4:5], v6, s4, v[4:5]
	s_mov_b32 s4, 0xfc2757d1
	v_cmp_lt_u32_e32 vcc, 63, v13
	v_mov_b32_e32 v4, v11
	v_mad_u64_u32 v[11:12], s[4:5], v6, s4, v[4:5]
	v_cndmask_b32_e32 v4, 0, v14, vcc
	v_add_u32_e32 v14, v4, v13
	v_mov_b32_e32 v4, v12
	s_mov_b32 s4, 0x4e441529
	v_mad_u64_u32 v[12:13], s[4:5], v6, s4, v[4:5]
	v_not_b32_e32 v15, 31
	v_cmp_lt_u32_e64 s[4:5], 31, v14
	v_cndmask_b32_e64 v4, 0, v15, s[4:5]
	v_add_u32_e32 v14, v4, v14
	v_mov_b32_e32 v4, v13
	s_mov_b32 s6, 0xa2f9836e
	v_mad_u64_u32 v[4:5], s[6:7], v6, s6, v[4:5]
	v_cmp_lt_u32_e64 s[6:7], 31, v14
	v_cndmask_b32_e64 v6, 0, v15, s[6:7]
	v_cndmask_b32_e32 v13, v12, v10, vcc
	v_cndmask_b32_e32 v4, v4, v11, vcc
	;; [unrolled: 1-line block ×3, first 2 shown]
	v_add_u32_e32 v6, v6, v14
	v_cndmask_b32_e64 v14, v4, v13, s[4:5]
	v_cndmask_b32_e64 v4, v5, v4, s[4:5]
	v_cndmask_b32_e32 v5, v11, v9, vcc
	v_cndmask_b32_e64 v11, v13, v5, s[4:5]
	v_cndmask_b32_e64 v4, v4, v14, s[6:7]
	v_cndmask_b32_e64 v12, v14, v11, s[6:7]
	v_sub_u32_e32 v13, 32, v6
	v_alignbit_b32 v14, v4, v12, v13
	v_cmp_eq_u32_e64 s[8:9], 0, v6
	v_cndmask_b32_e64 v6, v14, v4, s[8:9]
	v_cndmask_b32_e32 v4, v10, v8, vcc
	v_cndmask_b32_e64 v5, v5, v4, s[4:5]
	v_cndmask_b32_e64 v8, v11, v5, s[6:7]
	v_alignbit_b32 v10, v12, v8, v13
	v_cndmask_b32_e32 v3, v9, v3, vcc
	v_cndmask_b32_e64 v10, v10, v12, s[8:9]
	v_bfe_u32 v14, v6, 29, 1
	v_cndmask_b32_e64 v3, v4, v3, s[4:5]
	v_alignbit_b32 v11, v6, v10, 30
	v_sub_u32_e32 v15, 0, v14
	v_cndmask_b32_e64 v3, v5, v3, s[6:7]
	v_xor_b32_e32 v11, v11, v15
	v_alignbit_b32 v4, v8, v3, v13
	v_cndmask_b32_e64 v4, v4, v8, s[8:9]
	v_ffbh_u32_e32 v8, v11
	v_alignbit_b32 v5, v10, v4, 30
	v_min_u32_e32 v8, 32, v8
	v_alignbit_b32 v3, v4, v3, 30
	v_xor_b32_e32 v5, v5, v15
	v_sub_u32_e32 v9, 31, v8
	v_xor_b32_e32 v3, v3, v15
	v_alignbit_b32 v10, v11, v5, v9
	v_alignbit_b32 v3, v5, v3, v9
	;; [unrolled: 1-line block ×3, first 2 shown]
	v_ffbh_u32_e32 v5, v4
	v_min_u32_e32 v5, 32, v5
	v_lshrrev_b32_e32 v12, 29, v6
	v_not_b32_e32 v9, v5
	v_alignbit_b32 v3, v4, v3, v9
	v_lshlrev_b32_e32 v4, 31, v12
	v_or_b32_e32 v9, 0x33000000, v4
	v_add_lshl_u32 v5, v5, v8, 23
	v_lshrrev_b32_e32 v3, 9, v3
	v_sub_u32_e32 v5, v9, v5
	v_or_b32_e32 v4, 0.5, v4
	v_lshlrev_b32_e32 v8, 23, v8
	v_or_b32_e32 v3, v5, v3
	v_lshrrev_b32_e32 v5, 9, v10
	v_sub_u32_e32 v4, v4, v8
	v_or_b32_e32 v4, v5, v4
	s_mov_b32 s4, 0x3fc90fda
	v_mul_f32_e32 v5, 0x3fc90fda, v4
	v_fma_f32 v8, v4, s4, -v5
	v_fmac_f32_e32 v8, 0x33a22168, v4
	v_fmac_f32_e32 v8, 0x3fc90fda, v3
	v_lshrrev_b32_e32 v3, 30, v6
	v_add_f32_e32 v4, v5, v8
	v_add_u32_e32 v3, v14, v3
	s_andn2_saveexec_b64 s[4:5], s[16:17]
	s_cbranch_execz .LBB15_14
	s_branch .LBB15_13
.LBB15_6:
	s_andn2_saveexec_b64 s[10:11], s[10:11]
	s_cbranch_execz .LBB15_24
.LBB15_7:
	s_mov_b32 s4, 0xc0a00000
	v_cmp_le_f32_e32 vcc, s4, v1
                                        ; implicit-def: $vgpr0
	s_and_saveexec_b64 s[4:5], vcc
	s_xor_b64 s[4:5], exec, s[4:5]
	s_cbranch_execz .LBB15_9
; %bb.8:
	v_mul_f32_e32 v0, v1, v1
	v_mov_b32_e32 v2, 0xce5691e2
	v_fmac_f32_e32 v2, 0, v0
	v_mov_b32_e32 v3, 0x52d295d0
	v_fmac_f32_e32 v3, v0, v2
	;; [unrolled: 2-line block ×12, first 2 shown]
	v_div_scale_f32 v0, s[6:7], v4, v4, v3
	v_div_scale_f32 v2, vcc, v3, v4, v3
	v_rcp_f32_e32 v5, v0
	v_fma_f32 v6, -v0, v5, 1.0
	v_fmac_f32_e32 v5, v6, v5
	v_mul_f32_e32 v6, v2, v5
	v_fma_f32 v7, -v0, v6, v2
	v_fmac_f32_e32 v6, v7, v5
	v_fma_f32 v0, -v0, v6, v2
	v_div_fmas_f32 v0, v0, v5, v6
	v_mov_b32_e32 v2, 0xc16ae95a
	v_mov_b32_e32 v5, 0xc244dfb3
	v_fmac_f32_e32 v2, v1, v1
	v_fmac_f32_e32 v5, v1, v1
	v_div_fixup_f32 v0, v0, v4, v3
	v_mul_f32_e64 v0, v0, -v1
	v_mul_f32_e32 v0, v2, v0
	v_mul_f32_e32 v0, v5, v0
                                        ; implicit-def: $vgpr1
.LBB15_9:
	s_andn2_saveexec_b64 s[12:13], s[4:5]
	s_cbranch_execz .LBB15_28
; %bb.10:
	v_sub_f32_e32 v0, 0xc016cbe4, v1
	v_and_b32_e32 v2, 0x7fffffff, v0
	s_brev_b32 s4, 18
	v_cmp_nlt_f32_e64 s[14:15], |v0|, s4
	v_lshrrev_b32_e32 v7, 23, v2
                                        ; implicit-def: $vgpr3
                                        ; implicit-def: $vgpr4
	s_and_saveexec_b64 s[4:5], s[14:15]
	s_xor_b64 s[16:17], exec, s[4:5]
	s_cbranch_execz .LBB15_16
; %bb.11:
	v_and_b32_e32 v3, 0x7fffff, v2
	v_or_b32_e32 v6, 0x800000, v3
	s_mov_b32 s4, 0xfe5163ab
	v_mad_u64_u32 v[3:4], s[4:5], v6, s4, 0
	v_mov_b32_e32 v5, 0
	s_mov_b32 s4, 0x3c439041
	v_mad_u64_u32 v[8:9], s[4:5], v6, s4, v[4:5]
	s_mov_b32 s4, 0xdb629599
	v_add_u32_e32 v13, 0xffffff88, v7
	v_mov_b32_e32 v4, v9
	v_mad_u64_u32 v[9:10], s[4:5], v6, s4, v[4:5]
	s_mov_b32 s4, 0xf534ddc0
	v_not_b32_e32 v14, 63
	v_mov_b32_e32 v4, v10
	v_mad_u64_u32 v[10:11], s[4:5], v6, s4, v[4:5]
	s_mov_b32 s4, 0xfc2757d1
	v_cmp_lt_u32_e32 vcc, 63, v13
	v_mov_b32_e32 v4, v11
	v_mad_u64_u32 v[11:12], s[4:5], v6, s4, v[4:5]
	v_cndmask_b32_e32 v4, 0, v14, vcc
	v_add_u32_e32 v14, v4, v13
	v_mov_b32_e32 v4, v12
	s_mov_b32 s4, 0x4e441529
	v_mad_u64_u32 v[12:13], s[4:5], v6, s4, v[4:5]
	v_not_b32_e32 v15, 31
	v_cmp_lt_u32_e64 s[4:5], 31, v14
	v_cndmask_b32_e64 v4, 0, v15, s[4:5]
	v_add_u32_e32 v14, v4, v14
	v_mov_b32_e32 v4, v13
	s_mov_b32 s6, 0xa2f9836e
	v_mad_u64_u32 v[4:5], s[6:7], v6, s6, v[4:5]
	v_cmp_lt_u32_e64 s[6:7], 31, v14
	v_cndmask_b32_e64 v6, 0, v15, s[6:7]
	v_cndmask_b32_e32 v13, v12, v10, vcc
	v_cndmask_b32_e32 v4, v4, v11, vcc
	;; [unrolled: 1-line block ×3, first 2 shown]
	v_add_u32_e32 v6, v6, v14
	v_cndmask_b32_e64 v14, v4, v13, s[4:5]
	v_cndmask_b32_e64 v4, v5, v4, s[4:5]
	v_cndmask_b32_e32 v5, v11, v9, vcc
	v_cndmask_b32_e64 v11, v13, v5, s[4:5]
	v_cndmask_b32_e64 v4, v4, v14, s[6:7]
	;; [unrolled: 1-line block ×3, first 2 shown]
	v_sub_u32_e32 v13, 32, v6
	v_alignbit_b32 v14, v4, v12, v13
	v_cmp_eq_u32_e64 s[8:9], 0, v6
	v_cndmask_b32_e64 v6, v14, v4, s[8:9]
	v_cndmask_b32_e32 v4, v10, v8, vcc
	v_cndmask_b32_e64 v5, v5, v4, s[4:5]
	v_cndmask_b32_e64 v8, v11, v5, s[6:7]
	v_alignbit_b32 v10, v12, v8, v13
	v_cndmask_b32_e32 v3, v9, v3, vcc
	v_cndmask_b32_e64 v10, v10, v12, s[8:9]
	v_bfe_u32 v14, v6, 29, 1
	v_cndmask_b32_e64 v3, v4, v3, s[4:5]
	v_alignbit_b32 v11, v6, v10, 30
	v_sub_u32_e32 v15, 0, v14
	v_cndmask_b32_e64 v3, v5, v3, s[6:7]
	v_xor_b32_e32 v11, v11, v15
	v_alignbit_b32 v4, v8, v3, v13
	v_cndmask_b32_e64 v4, v4, v8, s[8:9]
	v_ffbh_u32_e32 v8, v11
	v_alignbit_b32 v5, v10, v4, 30
	v_min_u32_e32 v8, 32, v8
	v_alignbit_b32 v3, v4, v3, 30
	v_xor_b32_e32 v5, v5, v15
	v_sub_u32_e32 v9, 31, v8
	v_xor_b32_e32 v3, v3, v15
	v_alignbit_b32 v10, v11, v5, v9
	v_alignbit_b32 v3, v5, v3, v9
	;; [unrolled: 1-line block ×3, first 2 shown]
	v_ffbh_u32_e32 v5, v4
	v_min_u32_e32 v5, 32, v5
	v_lshrrev_b32_e32 v12, 29, v6
	v_not_b32_e32 v9, v5
	v_alignbit_b32 v3, v4, v3, v9
	v_lshlrev_b32_e32 v4, 31, v12
	v_or_b32_e32 v9, 0x33000000, v4
	v_add_lshl_u32 v5, v5, v8, 23
	v_lshrrev_b32_e32 v3, 9, v3
	v_sub_u32_e32 v5, v9, v5
	v_or_b32_e32 v4, 0.5, v4
	v_lshlrev_b32_e32 v8, 23, v8
	v_or_b32_e32 v3, v5, v3
	v_lshrrev_b32_e32 v5, 9, v10
	v_sub_u32_e32 v4, v4, v8
	v_or_b32_e32 v4, v5, v4
	s_mov_b32 s4, 0x3fc90fda
	v_mul_f32_e32 v5, 0x3fc90fda, v4
	v_fma_f32 v8, v4, s4, -v5
	v_fmac_f32_e32 v8, 0x33a22168, v4
	v_fmac_f32_e32 v8, 0x3fc90fda, v3
	v_lshrrev_b32_e32 v3, 30, v6
	v_add_f32_e32 v4, v5, v8
	v_add_u32_e32 v3, v14, v3
	s_andn2_saveexec_b64 s[4:5], s[16:17]
	s_cbranch_execz .LBB15_18
	s_branch .LBB15_17
.LBB15_12:
	s_andn2_saveexec_b64 s[4:5], s[16:17]
	s_cbranch_execz .LBB15_14
.LBB15_13:
	s_mov_b32 s6, 0x3f22f983
	v_mul_f32_e64 v3, |v0|, s6
	v_rndne_f32_e32 v5, v3
	s_mov_b32 s6, 0xbfc90fda
	v_cvt_i32_f32_e32 v3, v5
	v_fma_f32 v4, v5, s6, |v0|
	v_fmac_f32_e32 v4, 0xb3a22168, v5
	v_fmac_f32_e32 v4, 0xa7c234c4, v5
.LBB15_14:
	s_or_b64 exec, exec, s[4:5]
                                        ; implicit-def: $vgpr5
                                        ; implicit-def: $vgpr6
	s_and_saveexec_b64 s[4:5], s[14:15]
	s_xor_b64 s[14:15], exec, s[4:5]
	s_cbranch_execz .LBB15_20
; %bb.15:
	v_and_b32_e32 v5, 0x7fffff, v2
	v_or_b32_e32 v14, 0x800000, v5
	s_mov_b32 s4, 0xfe5163ab
	v_mad_u64_u32 v[5:6], s[4:5], v14, s4, 0
	v_mov_b32_e32 v9, 0
	s_mov_b32 s4, 0x3c439041
	v_mov_b32_e32 v8, v6
	v_mad_u64_u32 v[10:11], s[4:5], v14, s4, v[8:9]
	s_mov_b32 s4, 0xdb629599
	v_add_u32_e32 v15, 0xffffff88, v7
	v_mov_b32_e32 v8, v11
	v_mad_u64_u32 v[11:12], s[4:5], v14, s4, v[8:9]
	s_mov_b32 s4, 0xf534ddc0
	v_not_b32_e32 v16, 63
	v_mov_b32_e32 v8, v12
	v_mad_u64_u32 v[12:13], s[4:5], v14, s4, v[8:9]
	s_mov_b32 s4, 0xfc2757d1
	v_cmp_lt_u32_e32 vcc, 63, v15
	v_mov_b32_e32 v8, v13
	v_mad_u64_u32 v[6:7], s[4:5], v14, s4, v[8:9]
	v_cndmask_b32_e32 v8, 0, v16, vcc
	v_add_u32_e32 v13, v8, v15
	v_mov_b32_e32 v8, v7
	s_mov_b32 s4, 0x4e441529
	v_mad_u64_u32 v[7:8], s[4:5], v14, s4, v[8:9]
	v_not_b32_e32 v15, 31
	v_cmp_lt_u32_e64 s[4:5], 31, v13
	s_mov_b32 s6, 0xa2f9836e
	v_cndmask_b32_e64 v16, 0, v15, s[4:5]
	v_mad_u64_u32 v[8:9], s[6:7], v14, s6, v[8:9]
	v_add_u32_e32 v13, v16, v13
	v_cmp_lt_u32_e64 s[6:7], 31, v13
	v_cndmask_b32_e64 v14, 0, v15, s[6:7]
	v_add_u32_e32 v13, v14, v13
	v_cndmask_b32_e32 v14, v7, v12, vcc
	v_cndmask_b32_e32 v8, v8, v6, vcc
	v_cndmask_b32_e32 v7, v9, v7, vcc
	v_cndmask_b32_e32 v6, v6, v11, vcc
	v_cndmask_b32_e64 v15, v8, v14, s[4:5]
	v_cndmask_b32_e64 v7, v7, v8, s[4:5]
	v_cndmask_b32_e64 v8, v14, v6, s[4:5]
	v_cndmask_b32_e32 v10, v12, v10, vcc
	v_cndmask_b32_e64 v7, v7, v15, s[6:7]
	v_cndmask_b32_e64 v9, v15, v8, s[6:7]
	v_sub_u32_e32 v14, 32, v13
	v_cndmask_b32_e64 v6, v6, v10, s[4:5]
	v_alignbit_b32 v15, v7, v9, v14
	v_cmp_eq_u32_e64 s[8:9], 0, v13
	v_cndmask_b32_e64 v8, v8, v6, s[6:7]
	v_cndmask_b32_e32 v5, v11, v5, vcc
	v_cndmask_b32_e64 v7, v15, v7, s[8:9]
	v_alignbit_b32 v12, v9, v8, v14
	v_cndmask_b32_e64 v5, v10, v5, s[4:5]
	v_cndmask_b32_e64 v9, v12, v9, s[8:9]
	v_bfe_u32 v15, v7, 29, 1
	v_cndmask_b32_e64 v5, v6, v5, s[6:7]
	v_alignbit_b32 v12, v7, v9, 30
	v_sub_u32_e32 v16, 0, v15
	v_alignbit_b32 v6, v8, v5, v14
	v_xor_b32_e32 v12, v12, v16
	v_cndmask_b32_e64 v6, v6, v8, s[8:9]
	v_alignbit_b32 v8, v9, v6, 30
	v_ffbh_u32_e32 v9, v12
	v_min_u32_e32 v9, 32, v9
	v_alignbit_b32 v5, v6, v5, 30
	v_xor_b32_e32 v8, v8, v16
	v_sub_u32_e32 v10, 31, v9
	v_xor_b32_e32 v5, v5, v16
	v_alignbit_b32 v11, v12, v8, v10
	v_alignbit_b32 v5, v8, v5, v10
	v_alignbit_b32 v6, v11, v5, 9
	v_ffbh_u32_e32 v8, v6
	v_min_u32_e32 v8, 32, v8
	v_lshrrev_b32_e32 v13, 29, v7
	v_not_b32_e32 v10, v8
	v_alignbit_b32 v5, v6, v5, v10
	v_lshlrev_b32_e32 v6, 31, v13
	v_or_b32_e32 v10, 0x33000000, v6
	v_add_lshl_u32 v8, v8, v9, 23
	v_lshrrev_b32_e32 v5, 9, v5
	v_sub_u32_e32 v8, v10, v8
	v_or_b32_e32 v6, 0.5, v6
	v_lshlrev_b32_e32 v9, 23, v9
	v_or_b32_e32 v5, v8, v5
	v_lshrrev_b32_e32 v8, 9, v11
	v_sub_u32_e32 v6, v6, v9
	v_or_b32_e32 v6, v8, v6
	s_mov_b32 s4, 0x3fc90fda
	v_mul_f32_e32 v8, 0x3fc90fda, v6
	v_fma_f32 v9, v6, s4, -v8
	v_fmac_f32_e32 v9, 0x33a22168, v6
	v_fmac_f32_e32 v9, 0x3fc90fda, v5
	v_lshrrev_b32_e32 v5, 30, v7
	v_add_f32_e32 v6, v8, v9
	v_add_u32_e32 v5, v15, v5
	s_andn2_saveexec_b64 s[4:5], s[14:15]
	s_cbranch_execnz .LBB15_21
	s_branch .LBB15_22
.LBB15_16:
	s_andn2_saveexec_b64 s[4:5], s[16:17]
	s_cbranch_execz .LBB15_18
.LBB15_17:
	s_mov_b32 s6, 0x3f22f983
	v_mul_f32_e64 v3, |v0|, s6
	v_rndne_f32_e32 v5, v3
	s_mov_b32 s6, 0xbfc90fda
	v_cvt_i32_f32_e32 v3, v5
	v_fma_f32 v4, v5, s6, |v0|
	v_fmac_f32_e32 v4, 0xb3a22168, v5
	v_fmac_f32_e32 v4, 0xa7c234c4, v5
.LBB15_18:
	s_or_b64 exec, exec, s[4:5]
                                        ; implicit-def: $vgpr5
                                        ; implicit-def: $vgpr6
	s_and_saveexec_b64 s[4:5], s[14:15]
	s_xor_b64 s[14:15], exec, s[4:5]
	s_cbranch_execz .LBB15_25
; %bb.19:
	v_and_b32_e32 v5, 0x7fffff, v2
	v_or_b32_e32 v14, 0x800000, v5
	s_mov_b32 s4, 0xfe5163ab
	v_mad_u64_u32 v[5:6], s[4:5], v14, s4, 0
	v_mov_b32_e32 v9, 0
	s_mov_b32 s4, 0x3c439041
	v_mov_b32_e32 v8, v6
	v_mad_u64_u32 v[10:11], s[4:5], v14, s4, v[8:9]
	s_mov_b32 s4, 0xdb629599
	v_add_u32_e32 v15, 0xffffff88, v7
	v_mov_b32_e32 v8, v11
	v_mad_u64_u32 v[11:12], s[4:5], v14, s4, v[8:9]
	s_mov_b32 s4, 0xf534ddc0
	v_not_b32_e32 v16, 63
	v_mov_b32_e32 v8, v12
	v_mad_u64_u32 v[12:13], s[4:5], v14, s4, v[8:9]
	s_mov_b32 s4, 0xfc2757d1
	v_cmp_lt_u32_e32 vcc, 63, v15
	v_mov_b32_e32 v8, v13
	v_mad_u64_u32 v[6:7], s[4:5], v14, s4, v[8:9]
	v_cndmask_b32_e32 v8, 0, v16, vcc
	v_add_u32_e32 v13, v8, v15
	v_mov_b32_e32 v8, v7
	s_mov_b32 s4, 0x4e441529
	v_mad_u64_u32 v[7:8], s[4:5], v14, s4, v[8:9]
	v_not_b32_e32 v15, 31
	v_cmp_lt_u32_e64 s[4:5], 31, v13
	s_mov_b32 s6, 0xa2f9836e
	v_cndmask_b32_e64 v16, 0, v15, s[4:5]
	v_mad_u64_u32 v[8:9], s[6:7], v14, s6, v[8:9]
	v_add_u32_e32 v13, v16, v13
	v_cmp_lt_u32_e64 s[6:7], 31, v13
	v_cndmask_b32_e64 v14, 0, v15, s[6:7]
	v_add_u32_e32 v13, v14, v13
	v_cndmask_b32_e32 v14, v7, v12, vcc
	v_cndmask_b32_e32 v8, v8, v6, vcc
	;; [unrolled: 1-line block ×4, first 2 shown]
	v_cndmask_b32_e64 v15, v8, v14, s[4:5]
	v_cndmask_b32_e64 v7, v7, v8, s[4:5]
	;; [unrolled: 1-line block ×3, first 2 shown]
	v_cndmask_b32_e32 v10, v12, v10, vcc
	v_cndmask_b32_e64 v7, v7, v15, s[6:7]
	v_cndmask_b32_e64 v9, v15, v8, s[6:7]
	v_sub_u32_e32 v14, 32, v13
	v_cndmask_b32_e64 v6, v6, v10, s[4:5]
	v_alignbit_b32 v15, v7, v9, v14
	v_cmp_eq_u32_e64 s[8:9], 0, v13
	v_cndmask_b32_e64 v8, v8, v6, s[6:7]
	v_cndmask_b32_e32 v5, v11, v5, vcc
	v_cndmask_b32_e64 v7, v15, v7, s[8:9]
	v_alignbit_b32 v12, v9, v8, v14
	v_cndmask_b32_e64 v5, v10, v5, s[4:5]
	v_cndmask_b32_e64 v9, v12, v9, s[8:9]
	v_bfe_u32 v15, v7, 29, 1
	v_cndmask_b32_e64 v5, v6, v5, s[6:7]
	v_alignbit_b32 v12, v7, v9, 30
	v_sub_u32_e32 v16, 0, v15
	v_alignbit_b32 v6, v8, v5, v14
	v_xor_b32_e32 v12, v12, v16
	v_cndmask_b32_e64 v6, v6, v8, s[8:9]
	v_alignbit_b32 v8, v9, v6, 30
	v_ffbh_u32_e32 v9, v12
	v_min_u32_e32 v9, 32, v9
	v_alignbit_b32 v5, v6, v5, 30
	v_xor_b32_e32 v8, v8, v16
	v_sub_u32_e32 v10, 31, v9
	v_xor_b32_e32 v5, v5, v16
	v_alignbit_b32 v11, v12, v8, v10
	v_alignbit_b32 v5, v8, v5, v10
	;; [unrolled: 1-line block ×3, first 2 shown]
	v_ffbh_u32_e32 v8, v6
	v_min_u32_e32 v8, 32, v8
	v_lshrrev_b32_e32 v13, 29, v7
	v_not_b32_e32 v10, v8
	v_alignbit_b32 v5, v6, v5, v10
	v_lshlrev_b32_e32 v6, 31, v13
	v_or_b32_e32 v10, 0x33000000, v6
	v_add_lshl_u32 v8, v8, v9, 23
	v_lshrrev_b32_e32 v5, 9, v5
	v_sub_u32_e32 v8, v10, v8
	v_or_b32_e32 v6, 0.5, v6
	v_lshlrev_b32_e32 v9, 23, v9
	v_or_b32_e32 v5, v8, v5
	v_lshrrev_b32_e32 v8, 9, v11
	v_sub_u32_e32 v6, v6, v9
	v_or_b32_e32 v6, v8, v6
	s_mov_b32 s4, 0x3fc90fda
	v_mul_f32_e32 v8, 0x3fc90fda, v6
	v_fma_f32 v9, v6, s4, -v8
	v_fmac_f32_e32 v9, 0x33a22168, v6
	v_fmac_f32_e32 v9, 0x3fc90fda, v5
	v_lshrrev_b32_e32 v5, 30, v7
	v_add_f32_e32 v6, v8, v9
	v_add_u32_e32 v5, v15, v5
	s_andn2_saveexec_b64 s[4:5], s[14:15]
	s_cbranch_execnz .LBB15_26
	s_branch .LBB15_27
.LBB15_20:
	s_andn2_saveexec_b64 s[4:5], s[14:15]
	s_cbranch_execz .LBB15_22
.LBB15_21:
	s_mov_b32 s6, 0x3f22f983
	v_mul_f32_e64 v5, |v0|, s6
	v_rndne_f32_e32 v7, v5
	s_mov_b32 s6, 0xbfc90fda
	v_cvt_i32_f32_e32 v5, v7
	v_fma_f32 v6, v7, s6, |v0|
	v_fmac_f32_e32 v6, 0xb3a22168, v7
	v_fmac_f32_e32 v6, 0xa7c234c4, v7
.LBB15_22:
	s_or_b64 exec, exec, s[4:5]
	s_mov_b32 s6, 0x40a00000
	v_div_scale_f32 v7, s[4:5], v1, v1, s6
	v_div_scale_f32 v8, vcc, s6, v1, s6
	v_mov_b32_e32 v14, 0x3a15c4d9
	v_mov_b32_e32 v15, 0x3d8cfeeb
	;; [unrolled: 1-line block ×7, first 2 shown]
	v_rcp_f32_e32 v9, v7
	v_fma_f32 v10, -v7, v9, 1.0
	v_fmac_f32_e32 v9, v10, v9
	v_mul_f32_e32 v10, v8, v9
	v_fma_f32 v11, -v7, v10, v8
	v_fmac_f32_e32 v10, v11, v9
	v_fma_f32 v7, -v7, v10, v8
	v_div_fmas_f32 v7, v7, v9, v10
	v_mov_b32_e32 v8, 0x3a47c962
	v_mov_b32_e32 v9, 0x3d95ca45
	;; [unrolled: 1-line block ×4, first 2 shown]
	v_div_fixup_f32 v7, v7, v1, s6
	v_mul_f32_e32 v19, v7, v7
	v_fmac_f32_e32 v8, 0, v19
	v_fmac_f32_e32 v9, v19, v8
	v_mov_b32_e32 v8, 0x3d513fd3
	v_fmac_f32_e32 v14, 0, v19
	v_fmac_f32_e32 v15, v19, v14
	v_mov_b32_e32 v14, 0x409f6dae
	v_fmac_f32_e32 v8, 0, v19
	v_fmac_f32_e32 v14, v19, v8
	;; [unrolled: 1-line block ×3, first 2 shown]
	v_mov_b32_e32 v9, 0x4297a5cd
	v_fmac_f32_e32 v16, v19, v15
	v_mov_b32_e32 v15, 0x43b763ca
	v_fmac_f32_e32 v9, v19, v14
	;; [unrolled: 2-line block ×3, first 2 shown]
	v_fmac_f32_e32 v17, v19, v16
	v_fmac_f32_e32 v15, v19, v9
	v_mov_b32_e32 v8, 0x40a6b6ea
	v_mov_b32_e32 v10, 0x44155f56
	v_fmac_f32_e32 v12, v19, v11
	v_fmac_f32_e32 v18, v19, v17
	;; [unrolled: 1-line block ×6, first 2 shown]
	v_mov_b32_e32 v9, 0x4353b052
	v_fma_f32 v8, v19, v8, 1.0
	v_fmac_f32_e32 v9, v19, v10
	v_fma_f32 v10, v19, v13, 1.0
	v_div_scale_f32 v11, s[4:5], v8, v8, v10
	v_div_scale_f32 v13, vcc, v10, v8, v10
	v_mov_b32_e32 v12, 0x41c9a7fa
	v_fmac_f32_e32 v12, v19, v9
	v_mov_b32_e32 v9, 0x42947983
	v_fmac_f32_e32 v9, 0, v19
	;; [unrolled: 2-line block ×6, first 2 shown]
	v_rcp_f32_e32 v15, v11
	v_mov_b32_e32 v14, 0x4530a316
	v_fmac_f32_e32 v14, v19, v9
	v_mov_b32_e32 v9, 0x43a80bfb
	v_fmac_f32_e32 v9, v19, v14
	v_fma_f32 v14, -v11, v15, 1.0
	v_fmac_f32_e32 v15, v14, v15
	v_mul_f32_e32 v14, v13, v15
	v_fma_f32 v16, -v11, v14, v13
	v_fmac_f32_e32 v14, v16, v15
	v_fma_f32 v11, -v11, v14, v13
	v_div_fmas_f32 v11, v11, v15, v14
	v_div_scale_f32 v13, s[4:5], v9, v9, v12
	v_div_scale_f32 v14, vcc, v12, v9, v12
	v_mul_f32_e32 v15, v4, v4
	v_mov_b32_e32 v17, 0x3c0881c4
	v_mov_b32_e32 v18, 0xbe2aaa9d
	v_fmac_f32_e32 v17, 0xb94c1982, v15
	v_mov_b32_e32 v16, 0x3c0881c4
	s_movk_i32 s4, 0x1f8
	v_div_fixup_f32 v8, v11, v8, v10
	v_rcp_f32_e32 v11, v13
	v_fma_f32 v10, v15, v17, v18
	v_mul_f32_e32 v10, v15, v10
	v_fmac_f32_e32 v4, v4, v10
	v_fma_f32 v17, -v13, v11, 1.0
	v_fmac_f32_e32 v11, v17, v11
	v_mul_f32_e32 v17, v14, v11
	v_fma_f32 v19, -v13, v17, v14
	v_fmac_f32_e32 v17, v19, v11
	v_fma_f32 v13, -v13, v17, v14
	v_div_fmas_f32 v11, v13, v11, v17
	v_mov_b32_e32 v19, 0xbab64f3b
	v_fmac_f32_e32 v19, 0x37d75334, v15
	v_mov_b32_e32 v13, 0x3d2aabf7
	v_mov_b32_e32 v10, 0xbab64f3b
	v_fma_f32 v14, v15, v19, v13
	v_mov_b32_e32 v17, 0xbf000004
	v_fma_f32 v14, v15, v14, v17
	v_fma_f32 v14, v15, v14, 1.0
	v_and_b32_e32 v15, 1, v3
	v_cmp_eq_u32_e32 vcc, 0, v15
	v_cndmask_b32_e64 v4, -v4, v14, vcc
	v_lshlrev_b32_e32 v3, 30, v3
	v_cmp_class_f32_e64 vcc, v0, s4
	v_xor_b32_e32 v0, v2, v0
	v_and_b32_e32 v3, 0x80000000, v3
	v_div_fixup_f32 v9, v11, v9, v12
	v_mul_f32_e32 v7, v7, v9
	v_mul_f32_e32 v9, v6, v6
	v_fmac_f32_e32 v16, 0xb94c1982, v9
	v_fmac_f32_e32 v10, 0x37d75334, v9
	;; [unrolled: 1-line block ×4, first 2 shown]
	v_mul_f32_e32 v11, v9, v18
	v_fmac_f32_e32 v17, v9, v13
	v_and_b32_e32 v10, 1, v5
	v_lshlrev_b32_e32 v5, 30, v5
	v_fmac_f32_e32 v6, v6, v11
	v_fma_f32 v9, v9, v17, 1.0
	v_cmp_eq_u32_e64 s[4:5], 0, v10
	v_and_b32_e32 v5, 0x80000000, v5
	v_cndmask_b32_e64 v6, v9, v6, s[4:5]
	v_xor_b32_e32 v0, v0, v5
	v_xor_b32_e32 v3, v3, v4
	v_mov_b32_e32 v4, 0x7fc00000
	v_xor_b32_e32 v0, v0, v6
	s_mov_b32 s4, 0xf800000
	v_cndmask_b32_e32 v3, v4, v3, vcc
	v_cndmask_b32_e32 v0, v4, v0, vcc
	v_mul_f32_e32 v2, 0x4f800000, v1
	v_cmp_gt_f32_e32 vcc, s4, v1
	v_cndmask_b32_e32 v1, v1, v2, vcc
	v_sqrt_f32_e32 v2, v1
	v_mul_f32_e32 v0, v7, v0
	v_fma_f32 v0, v8, v3, -v0
	v_mul_f32_e32 v0, 0x3f4c422a, v0
	v_add_u32_e32 v3, -1, v2
	v_fma_f32 v4, -v3, v2, v1
	v_cmp_ge_f32_e64 s[4:5], 0, v4
	v_add_u32_e32 v4, 1, v2
	v_cndmask_b32_e64 v3, v2, v3, s[4:5]
	v_fma_f32 v2, -v4, v2, v1
	v_cmp_lt_f32_e64 s[4:5], 0, v2
	v_cndmask_b32_e64 v2, v3, v4, s[4:5]
	v_mul_f32_e32 v3, 0x37800000, v2
	v_cndmask_b32_e32 v2, v2, v3, vcc
	v_mov_b32_e32 v3, 0x260
	v_cmp_class_f32_e32 vcc, v1, v3
	v_cndmask_b32_e32 v1, v2, v1, vcc
	v_div_scale_f32 v2, s[4:5], v1, v1, v0
	v_div_scale_f32 v3, vcc, v0, v1, v0
	v_rcp_f32_e32 v4, v2
	v_fma_f32 v5, -v2, v4, 1.0
	v_fmac_f32_e32 v4, v5, v4
	v_mul_f32_e32 v5, v3, v4
	v_fma_f32 v6, -v2, v5, v3
	v_fmac_f32_e32 v5, v6, v4
	v_fma_f32 v2, -v2, v5, v3
	v_div_fmas_f32 v2, v2, v4, v5
	v_div_fixup_f32 v0, v2, v1, v0
.LBB15_23:
	s_or_b64 exec, exec, s[12:13]
                                        ; implicit-def: $vgpr1
	s_andn2_saveexec_b64 s[10:11], s[10:11]
	s_cbranch_execnz .LBB15_7
.LBB15_24:
	s_or_b64 exec, exec, s[10:11]
	s_setpc_b64 s[30:31]
.LBB15_25:
	s_andn2_saveexec_b64 s[4:5], s[14:15]
	s_cbranch_execz .LBB15_27
.LBB15_26:
	s_mov_b32 s6, 0x3f22f983
	v_mul_f32_e64 v5, |v0|, s6
	v_rndne_f32_e32 v7, v5
	s_mov_b32 s6, 0xbfc90fda
	v_cvt_i32_f32_e32 v5, v7
	v_fma_f32 v6, v7, s6, |v0|
	v_fmac_f32_e32 v6, 0xb3a22168, v7
	v_fmac_f32_e32 v6, 0xa7c234c4, v7
.LBB15_27:
	s_or_b64 exec, exec, s[4:5]
	s_mov_b32 s6, 0xc0a00000
	v_div_scale_f32 v7, s[4:5], v1, v1, s6
	v_div_scale_f32 v8, vcc, s6, v1, s6
	v_mov_b32_e32 v14, 0x3a15c4d9
	v_mov_b32_e32 v15, 0x3d8cfeeb
	;; [unrolled: 1-line block ×8, first 2 shown]
	v_rcp_f32_e32 v9, v7
	v_fma_f32 v10, -v7, v9, 1.0
	v_fmac_f32_e32 v9, v10, v9
	v_mul_f32_e32 v10, v8, v9
	v_fma_f32 v11, -v7, v10, v8
	v_fmac_f32_e32 v10, v11, v9
	v_fma_f32 v7, -v7, v10, v8
	v_div_fmas_f32 v7, v7, v9, v10
	v_mov_b32_e32 v8, 0x3a47c962
	v_mov_b32_e32 v9, 0x3d95ca45
	;; [unrolled: 1-line block ×4, first 2 shown]
	v_div_fixup_f32 v7, v7, v1, s6
	v_mul_f32_e32 v7, v7, v7
	v_fmac_f32_e32 v8, 0, v7
	v_fmac_f32_e32 v14, 0, v7
	;; [unrolled: 1-line block ×12, first 2 shown]
	v_fma_f32 v8, v7, v19, 1.0
	v_fma_f32 v9, v7, v13, 1.0
	v_div_scale_f32 v10, s[4:5], v8, v8, v9
	v_div_scale_f32 v11, vcc, v9, v8, v9
	v_mov_b32_e32 v12, 0x3d513fd3
	v_mov_b32_e32 v13, 0x409f6dae
	v_fmac_f32_e32 v12, 0, v7
	v_mov_b32_e32 v15, 0x4297a5cd
	v_fmac_f32_e32 v13, v7, v12
	v_mov_b32_e32 v16, 0x43b763ca
	v_fmac_f32_e32 v15, v7, v13
	v_mov_b32_e32 v17, 0x4431b6ce
	v_fmac_f32_e32 v16, v7, v15
	s_mov_b32 s6, 0x40a00000
	v_fmac_f32_e32 v17, v7, v16
	v_div_scale_f32 v16, s[4:5], v1, v1, s6
	v_rcp_f32_e32 v14, v10
	v_mov_b32_e32 v12, 0x44840e5d
	v_mov_b32_e32 v13, 0x46156947
	;; [unrolled: 1-line block ×3, first 2 shown]
	v_fma_f32 v18, -v10, v14, 1.0
	v_fmac_f32_e32 v14, v18, v14
	v_mul_f32_e32 v18, v11, v14
	v_fma_f32 v19, -v10, v18, v11
	v_fmac_f32_e32 v18, v19, v14
	v_fma_f32 v10, -v10, v18, v11
	v_div_fmas_f32 v10, v10, v14, v18
	v_mov_b32_e32 v18, 0x42947983
	v_fmac_f32_e32 v18, 0, v7
	v_fmac_f32_e32 v12, v7, v18
	v_mov_b32_e32 v18, 0x459bd349
	v_fmac_f32_e32 v18, v7, v12
	v_mov_b32_e32 v12, 0x45f9e855
	;; [unrolled: 2-line block ×4, first 2 shown]
	v_fmac_f32_e32 v19, v7, v17
	v_fmac_f32_e32 v15, v7, v12
	v_div_scale_f32 v12, vcc, s6, v1, s6
	v_mov_b32_e32 v14, 0x41c9a7fa
	v_mov_b32_e32 v18, 0x43a80bfb
	v_fmac_f32_e32 v11, v7, v19
	v_fmac_f32_e32 v18, v7, v15
	;; [unrolled: 1-line block ×3, first 2 shown]
	v_div_scale_f32 v7, s[4:5], v18, v18, v14
	v_div_scale_f32 v15, s[4:5], v14, v18, v14
	v_mul_f32_e32 v13, v4, v4
	v_div_fixup_f32 v8, v10, v8, v9
	v_mov_b32_e32 v9, 0x3c0881c4
	v_rcp_f32_e32 v11, v16
	v_fmac_f32_e32 v9, 0xb94c1982, v13
	v_mov_b32_e32 v10, 0xbe2aaa9d
	v_fma_f32 v9, v13, v9, v10
	v_mul_f32_e32 v9, v13, v9
	v_fmac_f32_e32 v4, v4, v9
	v_fma_f32 v9, -v16, v11, 1.0
	v_fmac_f32_e32 v11, v9, v11
	v_mul_f32_e32 v9, v12, v11
	v_fma_f32 v19, -v16, v9, v12
	v_fmac_f32_e32 v9, v19, v11
	v_fma_f32 v12, -v16, v9, v12
	v_rcp_f32_e32 v16, v7
	v_div_fmas_f32 v9, v12, v11, v9
	s_mov_b64 vcc, s[4:5]
	v_mov_b32_e32 v17, 0x3c0881c4
	v_fma_f32 v11, -v7, v16, 1.0
	v_fmac_f32_e32 v16, v11, v16
	v_mul_f32_e32 v11, v15, v16
	v_fma_f32 v12, -v7, v11, v15
	v_fmac_f32_e32 v11, v12, v16
	v_fma_f32 v7, -v7, v11, v15
	v_div_fmas_f32 v7, v7, v16, v11
	v_mov_b32_e32 v12, 0xbab64f3b
	v_fmac_f32_e32 v12, 0x37d75334, v13
	v_mov_b32_e32 v15, 0x3d2aabf7
	v_mov_b32_e32 v19, 0xbab64f3b
	v_fma_f32 v11, v13, v12, v15
	v_mov_b32_e32 v12, 0xbf000004
	v_div_fixup_f32 v9, v9, v1, s6
	v_fma_f32 v11, v13, v11, v12
	v_fma_f32 v11, v13, v11, 1.0
	v_and_b32_e32 v13, 1, v3
	v_cmp_eq_u32_e32 vcc, 0, v13
	s_movk_i32 s4, 0x1f8
	v_cndmask_b32_e64 v4, -v4, v11, vcc
	v_lshlrev_b32_e32 v3, 30, v3
	v_cmp_class_f32_e64 vcc, v0, s4
	v_div_fixup_f32 v7, v7, v18, v14
	v_mul_f32_e32 v7, v9, v7
	v_mul_f32_e32 v9, v6, v6
	v_fmac_f32_e32 v17, 0xb94c1982, v9
	v_fmac_f32_e32 v10, v9, v17
	;; [unrolled: 1-line block ×3, first 2 shown]
	v_mul_f32_e32 v10, v9, v10
	v_fmac_f32_e32 v15, v9, v19
	v_fmac_f32_e32 v6, v6, v10
	;; [unrolled: 1-line block ×3, first 2 shown]
	v_and_b32_e32 v10, 1, v5
	v_lshlrev_b32_e32 v5, 30, v5
	v_fma_f32 v9, v9, v12, 1.0
	v_cmp_eq_u32_e64 s[4:5], 0, v10
	v_and_b32_e32 v5, 0x80000000, v5
	v_xor_b32_e32 v0, v2, v0
	v_and_b32_e32 v3, 0x80000000, v3
	v_cndmask_b32_e64 v6, v9, v6, s[4:5]
	v_xor_b32_e32 v0, v0, v5
	v_xor_b32_e32 v3, v3, v4
	v_mov_b32_e32 v4, 0x7fc00000
	v_xor_b32_e32 v0, v0, v6
	s_mov_b32 s4, 0x8f800000
	v_cndmask_b32_e32 v3, v4, v3, vcc
	v_cndmask_b32_e32 v0, v4, v0, vcc
	v_mul_f32_e32 v2, 0xcf800000, v1
	v_cmp_lt_f32_e32 vcc, s4, v1
	v_cndmask_b32_e64 v1, -v1, v2, vcc
	v_sqrt_f32_e32 v2, v1
	v_mul_f32_e32 v0, v7, v0
	v_fmac_f32_e32 v0, v8, v3
	v_mul_f32_e32 v0, 0x3f4c422a, v0
	v_add_u32_e32 v3, -1, v2
	v_fma_f32 v4, -v3, v2, v1
	v_cmp_ge_f32_e64 s[4:5], 0, v4
	v_add_u32_e32 v4, 1, v2
	v_cndmask_b32_e64 v3, v2, v3, s[4:5]
	v_fma_f32 v2, -v4, v2, v1
	v_cmp_lt_f32_e64 s[4:5], 0, v2
	v_cndmask_b32_e64 v2, v3, v4, s[4:5]
	v_mul_f32_e32 v3, 0x37800000, v2
	v_cndmask_b32_e32 v2, v2, v3, vcc
	v_mov_b32_e32 v3, 0x260
	v_cmp_class_f32_e32 vcc, v1, v3
	v_cndmask_b32_e32 v1, v2, v1, vcc
	v_div_scale_f32 v2, s[4:5], v1, v1, v0
	v_div_scale_f32 v3, vcc, v0, v1, v0
	v_rcp_f32_e32 v4, v2
	v_fma_f32 v5, -v2, v4, 1.0
	v_fmac_f32_e32 v4, v5, v4
	v_mul_f32_e32 v5, v3, v4
	v_fma_f32 v6, -v2, v5, v3
	v_fmac_f32_e32 v5, v6, v4
	v_fma_f32 v2, -v2, v5, v3
	v_div_fmas_f32 v2, v2, v4, v5
	v_div_fixup_f32 v0, v2, v1, v0
.LBB15_28:
	s_or_b64 exec, exec, s[12:13]
	v_xor_b32_e32 v0, 0x80000000, v0
	s_or_b64 exec, exec, s[10:11]
	s_setpc_b64 s[30:31]
.Lfunc_end15:
	.size	_ZN2at6native6invokeIZZZNS0_12_GLOBAL__N_121bessel_j1_kernel_cudaERNS_18TensorIteratorBaseEENKUlvE_clEvENKUlvE0_clEvEUlfE_j15function_traitsIS7_EEENT1_11result_typeERKT_PrKPcPKT0_i, .Lfunc_end15-_ZN2at6native6invokeIZZZNS0_12_GLOBAL__N_121bessel_j1_kernel_cudaERNS_18TensorIteratorBaseEENKUlvE_clEvENKUlvE0_clEvEUlfE_j15function_traitsIS7_EEENT1_11result_typeERKT_PrKPcPKT0_i
                                        ; -- End function
	.set .L_ZN2at6native6invokeIZZZNS0_12_GLOBAL__N_121bessel_j1_kernel_cudaERNS_18TensorIteratorBaseEENKUlvE_clEvENKUlvE0_clEvEUlfE_j15function_traitsIS7_EEENT1_11result_typeERKT_PrKPcPKT0_i.num_vgpr, 20
	.set .L_ZN2at6native6invokeIZZZNS0_12_GLOBAL__N_121bessel_j1_kernel_cudaERNS_18TensorIteratorBaseEENKUlvE_clEvENKUlvE0_clEvEUlfE_j15function_traitsIS7_EEENT1_11result_typeERKT_PrKPcPKT0_i.num_agpr, 0
	.set .L_ZN2at6native6invokeIZZZNS0_12_GLOBAL__N_121bessel_j1_kernel_cudaERNS_18TensorIteratorBaseEENKUlvE_clEvENKUlvE0_clEvEUlfE_j15function_traitsIS7_EEENT1_11result_typeERKT_PrKPcPKT0_i.numbered_sgpr, 32
	.set .L_ZN2at6native6invokeIZZZNS0_12_GLOBAL__N_121bessel_j1_kernel_cudaERNS_18TensorIteratorBaseEENKUlvE_clEvENKUlvE0_clEvEUlfE_j15function_traitsIS7_EEENT1_11result_typeERKT_PrKPcPKT0_i.num_named_barrier, 0
	.set .L_ZN2at6native6invokeIZZZNS0_12_GLOBAL__N_121bessel_j1_kernel_cudaERNS_18TensorIteratorBaseEENKUlvE_clEvENKUlvE0_clEvEUlfE_j15function_traitsIS7_EEENT1_11result_typeERKT_PrKPcPKT0_i.private_seg_size, 0
	.set .L_ZN2at6native6invokeIZZZNS0_12_GLOBAL__N_121bessel_j1_kernel_cudaERNS_18TensorIteratorBaseEENKUlvE_clEvENKUlvE0_clEvEUlfE_j15function_traitsIS7_EEENT1_11result_typeERKT_PrKPcPKT0_i.uses_vcc, 1
	.set .L_ZN2at6native6invokeIZZZNS0_12_GLOBAL__N_121bessel_j1_kernel_cudaERNS_18TensorIteratorBaseEENKUlvE_clEvENKUlvE0_clEvEUlfE_j15function_traitsIS7_EEENT1_11result_typeERKT_PrKPcPKT0_i.uses_flat_scratch, 0
	.set .L_ZN2at6native6invokeIZZZNS0_12_GLOBAL__N_121bessel_j1_kernel_cudaERNS_18TensorIteratorBaseEENKUlvE_clEvENKUlvE0_clEvEUlfE_j15function_traitsIS7_EEENT1_11result_typeERKT_PrKPcPKT0_i.has_dyn_sized_stack, 0
	.set .L_ZN2at6native6invokeIZZZNS0_12_GLOBAL__N_121bessel_j1_kernel_cudaERNS_18TensorIteratorBaseEENKUlvE_clEvENKUlvE0_clEvEUlfE_j15function_traitsIS7_EEENT1_11result_typeERKT_PrKPcPKT0_i.has_recursion, 0
	.set .L_ZN2at6native6invokeIZZZNS0_12_GLOBAL__N_121bessel_j1_kernel_cudaERNS_18TensorIteratorBaseEENKUlvE_clEvENKUlvE0_clEvEUlfE_j15function_traitsIS7_EEENT1_11result_typeERKT_PrKPcPKT0_i.has_indirect_call, 0
	.section	.AMDGPU.csdata,"",@progbits
; Function info:
; codeLenInByte = 5624
; TotalNumSgprs: 36
; NumVgprs: 20
; ScratchSize: 0
; MemoryBound: 0
	.section	.text._ZN2at6native32elementwise_kernel_manual_unrollILi128ELi4EZNS0_22gpu_kernel_impl_nocastIZZZNS0_12_GLOBAL__N_121bessel_j1_kernel_cudaERNS_18TensorIteratorBaseEENKUlvE_clEvENKUlvE0_clEvEUlfE_EEvS5_RKT_EUlibE_EEviT1_,"axG",@progbits,_ZN2at6native32elementwise_kernel_manual_unrollILi128ELi4EZNS0_22gpu_kernel_impl_nocastIZZZNS0_12_GLOBAL__N_121bessel_j1_kernel_cudaERNS_18TensorIteratorBaseEENKUlvE_clEvENKUlvE0_clEvEUlfE_EEvS5_RKT_EUlibE_EEviT1_,comdat
	.globl	_ZN2at6native32elementwise_kernel_manual_unrollILi128ELi4EZNS0_22gpu_kernel_impl_nocastIZZZNS0_12_GLOBAL__N_121bessel_j1_kernel_cudaERNS_18TensorIteratorBaseEENKUlvE_clEvENKUlvE0_clEvEUlfE_EEvS5_RKT_EUlibE_EEviT1_ ; -- Begin function _ZN2at6native32elementwise_kernel_manual_unrollILi128ELi4EZNS0_22gpu_kernel_impl_nocastIZZZNS0_12_GLOBAL__N_121bessel_j1_kernel_cudaERNS_18TensorIteratorBaseEENKUlvE_clEvENKUlvE0_clEvEUlfE_EEvS5_RKT_EUlibE_EEviT1_
	.p2align	8
	.type	_ZN2at6native32elementwise_kernel_manual_unrollILi128ELi4EZNS0_22gpu_kernel_impl_nocastIZZZNS0_12_GLOBAL__N_121bessel_j1_kernel_cudaERNS_18TensorIteratorBaseEENKUlvE_clEvENKUlvE0_clEvEUlfE_EEvS5_RKT_EUlibE_EEviT1_,@function
_ZN2at6native32elementwise_kernel_manual_unrollILi128ELi4EZNS0_22gpu_kernel_impl_nocastIZZZNS0_12_GLOBAL__N_121bessel_j1_kernel_cudaERNS_18TensorIteratorBaseEENKUlvE_clEvENKUlvE0_clEvEUlfE_EEvS5_RKT_EUlibE_EEviT1_: ; @_ZN2at6native32elementwise_kernel_manual_unrollILi128ELi4EZNS0_22gpu_kernel_impl_nocastIZZZNS0_12_GLOBAL__N_121bessel_j1_kernel_cudaERNS_18TensorIteratorBaseEENKUlvE_clEvENKUlvE0_clEvEUlfE_EEvS5_RKT_EUlibE_EEviT1_
; %bb.0:
	s_load_dword s59, s[4:5], 0x0
	s_load_dword s33, s[4:5], 0x8
	s_add_u32 s0, s0, s7
	s_addc_u32 s1, s1, 0
	s_add_u32 s34, s4, 8
	s_addc_u32 s35, s5, 0
	v_lshl_or_b32 v22, s6, 9, v0
	s_waitcnt lgkmcnt(0)
	s_add_i32 s58, s33, -1
	v_or_b32_e32 v0, 0x180, v22
	s_cmp_gt_u32 s58, 1
	v_cmp_le_i32_e32 vcc, s59, v0
	s_cselect_b64 s[40:41], -1, 0
	s_mov_b32 s32, 0
	s_and_saveexec_b64 s[4:5], vcc
	s_xor_b64 s[42:43], exec, s[4:5]
	s_cbranch_execz .LBB16_7
; %bb.1:
	s_load_dwordx4 s[36:39], s[34:35], 0x4
	s_load_dwordx2 s[44:45], s[34:35], 0x14
	s_load_dwordx4 s[24:27], s[34:35], 0xc4
	s_load_dwordx4 s[20:23], s[34:35], 0x148
	s_cmp_lg_u32 s33, 0
	s_cselect_b64 s[50:51], -1, 0
	s_add_u32 s48, s34, 0xc4
	s_addc_u32 s49, s35, 0
	s_min_u32 s60, s58, 15
	s_cmp_gt_u32 s33, 1
	s_cselect_b64 s[46:47], -1, 0
	v_cmp_gt_i32_e32 vcc, s59, v22
	s_and_saveexec_b64 s[52:53], vcc
	s_cbranch_execz .LBB16_14
; %bb.2:
	s_andn2_b64 vcc, exec, s[40:41]
	s_cbranch_vccnz .LBB16_21
; %bb.3:
	s_andn2_b64 vcc, exec, s[50:51]
	s_cbranch_vccnz .LBB16_73
; %bb.4:
	s_add_i32 s62, s60, 1
	s_cmp_eq_u32 s58, 2
	s_cbranch_scc1 .LBB16_75
; %bb.5:
	s_and_b32 s61, s62, 28
	v_mov_b32_e32 v2, 0
	s_mov_b32 s63, 0
	s_mov_b64 s[54:55], s[34:35]
	s_mov_b64 s[56:57], s[48:49]
	v_mov_b32_e32 v20, 0
	v_mov_b32_e32 v0, v22
.LBB16_6:                               ; =>This Inner Loop Header: Depth=1
	s_load_dwordx8 s[12:19], s[54:55], 0x4
	s_load_dwordx4 s[28:31], s[54:55], 0x24
	s_load_dwordx8 s[4:11], s[56:57], 0x0
	s_add_u32 s54, s54, 48
	s_addc_u32 s55, s55, 0
	s_waitcnt lgkmcnt(0)
	v_mul_hi_u32 v1, s13, v0
	s_add_i32 s63, s63, 4
	s_add_u32 s56, s56, 32
	s_addc_u32 s57, s57, 0
	v_add_u32_e32 v1, v0, v1
	v_lshrrev_b32_e32 v1, s14, v1
	v_mul_lo_u32 v3, v1, s12
	v_mul_hi_u32 v4, s16, v1
	s_cmp_lg_u32 s61, s63
	v_sub_u32_e32 v0, v0, v3
	v_add_u32_e32 v3, v1, v4
	v_mul_lo_u32 v4, v0, s4
	v_mul_lo_u32 v5, v0, s5
	v_lshrrev_b32_e32 v0, s17, v3
	v_mul_lo_u32 v3, v0, s15
	v_mul_hi_u32 v6, s19, v0
	v_sub_u32_e32 v1, v1, v3
	v_add_u32_e32 v3, v0, v6
	v_lshrrev_b32_e32 v3, s28, v3
	v_mul_hi_u32 v7, s30, v3
	v_mul_lo_u32 v8, v3, s18
	v_mul_lo_u32 v6, v1, s6
	;; [unrolled: 1-line block ×3, first 2 shown]
	v_sub_u32_e32 v8, v0, v8
	v_add_u32_e32 v0, v3, v7
	v_lshrrev_b32_e32 v0, s31, v0
	v_mul_lo_u32 v7, v0, s29
	v_mul_lo_u32 v9, v8, s8
	;; [unrolled: 1-line block ×3, first 2 shown]
	v_add3_u32 v4, v4, v20, v6
	v_sub_u32_e32 v3, v3, v7
	v_mul_lo_u32 v7, v3, s10
	v_mul_lo_u32 v3, v3, s11
	v_add3_u32 v1, v5, v2, v1
	v_add3_u32 v20, v9, v4, v7
	;; [unrolled: 1-line block ×3, first 2 shown]
	s_cbranch_scc1 .LBB16_6
	s_branch .LBB16_76
.LBB16_7:
	s_andn2_saveexec_b64 s[4:5], s[42:43]
	s_cbranch_execz .LBB16_101
.LBB16_8:
	v_cndmask_b32_e64 v1, 0, 1, s[40:41]
	v_cmp_ne_u32_e64 s[4:5], 1, v1
	s_andn2_b64 vcc, exec, s[40:41]
	s_cbranch_vccnz .LBB16_20
; %bb.9:
	s_cmp_lg_u32 s33, 0
	s_mov_b32 s30, 0
	s_cbranch_scc0 .LBB16_23
; %bb.10:
	s_min_u32 s31, s58, 15
	s_add_i32 s31, s31, 1
	s_cmp_eq_u32 s58, 2
	s_cbranch_scc1 .LBB16_24
; %bb.11:
	s_and_b32 s30, s31, 28
	s_add_u32 s6, s34, 0xc4
	s_addc_u32 s7, s35, 0
	v_mov_b32_e32 v2, 0
	s_waitcnt lgkmcnt(0)
	s_mov_b32 s36, 0
	s_mov_b64 s[28:29], s[34:35]
	v_mov_b32_e32 v24, 0
	v_mov_b32_e32 v1, v22
.LBB16_12:                              ; =>This Inner Loop Header: Depth=1
	s_load_dwordx8 s[16:23], s[28:29], 0x4
	s_load_dwordx4 s[24:27], s[28:29], 0x24
	s_load_dwordx8 s[8:15], s[6:7], 0x0
	s_add_u32 s28, s28, 48
	s_addc_u32 s29, s29, 0
	s_waitcnt lgkmcnt(0)
	v_mul_hi_u32 v3, s17, v1
	s_add_i32 s36, s36, 4
	s_add_u32 s6, s6, 32
	s_addc_u32 s7, s7, 0
	v_add_u32_e32 v3, v1, v3
	v_lshrrev_b32_e32 v3, s18, v3
	v_mul_lo_u32 v4, v3, s16
	v_mul_hi_u32 v5, s20, v3
	s_cmp_lg_u32 s30, s36
	v_sub_u32_e32 v1, v1, v4
	v_add_u32_e32 v4, v3, v5
	v_mul_lo_u32 v5, v1, s8
	v_mul_lo_u32 v6, v1, s9
	v_lshrrev_b32_e32 v1, s21, v4
	v_mul_lo_u32 v4, v1, s19
	v_mul_hi_u32 v7, s23, v1
	v_sub_u32_e32 v3, v3, v4
	v_add_u32_e32 v4, v1, v7
	v_lshrrev_b32_e32 v4, s24, v4
	v_mul_hi_u32 v8, s26, v4
	v_mul_lo_u32 v9, v4, s22
	v_mul_lo_u32 v7, v3, s10
	;; [unrolled: 1-line block ×3, first 2 shown]
	v_sub_u32_e32 v9, v1, v9
	v_add_u32_e32 v1, v4, v8
	v_lshrrev_b32_e32 v1, s27, v1
	v_mul_lo_u32 v8, v1, s25
	v_mul_lo_u32 v10, v9, s12
	;; [unrolled: 1-line block ×3, first 2 shown]
	v_add3_u32 v5, v5, v24, v7
	v_sub_u32_e32 v4, v4, v8
	v_mul_lo_u32 v8, v4, s14
	v_mul_lo_u32 v4, v4, s15
	v_add3_u32 v2, v6, v2, v3
	v_add3_u32 v24, v10, v5, v8
	;; [unrolled: 1-line block ×3, first 2 shown]
	s_cbranch_scc1 .LBB16_12
; %bb.13:
	s_and_b32 s10, s31, 3
	s_cmp_eq_u32 s10, 0
	s_cbranch_scc0 .LBB16_25
	s_branch .LBB16_27
.LBB16_14:
	s_or_b64 exec, exec, s[52:53]
	v_cmp_gt_i32_e32 vcc, s59, v22
	s_and_saveexec_b64 s[52:53], vcc
	s_cbranch_execz .LBB16_83
.LBB16_15:
	s_andn2_b64 vcc, exec, s[40:41]
	s_cbranch_vccnz .LBB16_22
; %bb.16:
	s_andn2_b64 vcc, exec, s[50:51]
	s_cbranch_vccnz .LBB16_74
; %bb.17:
	s_add_i32 s62, s60, 1
	s_cmp_eq_u32 s58, 2
	s_cbranch_scc1 .LBB16_91
; %bb.18:
	s_and_b32 s61, s62, 28
	v_mov_b32_e32 v2, 0
	s_mov_b32 s63, 0
	s_mov_b64 s[54:55], s[34:35]
	s_mov_b64 s[56:57], s[48:49]
	v_mov_b32_e32 v20, 0
	v_mov_b32_e32 v0, v22
.LBB16_19:                              ; =>This Inner Loop Header: Depth=1
	s_load_dwordx8 s[12:19], s[54:55], 0x4
	s_load_dwordx4 s[28:31], s[54:55], 0x24
	s_load_dwordx8 s[4:11], s[56:57], 0x0
	s_add_u32 s54, s54, 48
	s_addc_u32 s55, s55, 0
	s_waitcnt lgkmcnt(0)
	v_mul_hi_u32 v1, s13, v0
	s_add_i32 s63, s63, 4
	s_add_u32 s56, s56, 32
	s_addc_u32 s57, s57, 0
	v_add_u32_e32 v1, v0, v1
	v_lshrrev_b32_e32 v1, s14, v1
	v_mul_lo_u32 v3, v1, s12
	v_mul_hi_u32 v4, s16, v1
	s_cmp_eq_u32 s61, s63
	v_sub_u32_e32 v0, v0, v3
	v_add_u32_e32 v3, v1, v4
	v_mul_lo_u32 v4, v0, s4
	v_mul_lo_u32 v5, v0, s5
	v_lshrrev_b32_e32 v0, s17, v3
	v_mul_lo_u32 v3, v0, s15
	v_mul_hi_u32 v6, s19, v0
	v_sub_u32_e32 v1, v1, v3
	v_add_u32_e32 v3, v0, v6
	v_lshrrev_b32_e32 v3, s28, v3
	v_mul_hi_u32 v7, s30, v3
	v_mul_lo_u32 v8, v3, s18
	v_mul_lo_u32 v6, v1, s6
	;; [unrolled: 1-line block ×3, first 2 shown]
	v_sub_u32_e32 v8, v0, v8
	v_add_u32_e32 v0, v3, v7
	v_lshrrev_b32_e32 v0, s31, v0
	v_mul_lo_u32 v7, v0, s29
	v_mul_lo_u32 v9, v8, s8
	;; [unrolled: 1-line block ×3, first 2 shown]
	v_add3_u32 v4, v4, v20, v6
	v_sub_u32_e32 v3, v3, v7
	v_mul_lo_u32 v7, v3, s10
	v_mul_lo_u32 v3, v3, s11
	v_add3_u32 v1, v5, v2, v1
	v_add3_u32 v20, v9, v4, v7
	;; [unrolled: 1-line block ×3, first 2 shown]
	s_cbranch_scc0 .LBB16_19
	s_branch .LBB16_92
.LBB16_20:
                                        ; implicit-def: $vgpr24
                                        ; implicit-def: $vgpr2
	s_branch .LBB16_28
.LBB16_21:
                                        ; implicit-def: $vgpr20
                                        ; implicit-def: $vgpr2
	s_branch .LBB16_80
.LBB16_22:
                                        ; implicit-def: $vgpr20
                                        ; implicit-def: $vgpr2
	s_branch .LBB16_96
.LBB16_23:
	v_mov_b32_e32 v24, 0
	v_mov_b32_e32 v2, 0
	s_branch .LBB16_27
.LBB16_24:
	v_mov_b32_e32 v24, 0
	v_mov_b32_e32 v2, 0
	;; [unrolled: 1-line block ×3, first 2 shown]
	s_and_b32 s10, s31, 3
	s_cmp_eq_u32 s10, 0
	s_cbranch_scc1 .LBB16_27
.LBB16_25:
	s_lshl_b32 s6, s30, 3
	s_add_u32 s6, s34, s6
	s_addc_u32 s7, s35, 0
	s_add_u32 s6, s6, 0xc4
	s_addc_u32 s7, s7, 0
	s_mul_i32 s8, s30, 12
	s_add_u32 s8, s34, s8
	s_addc_u32 s9, s35, 0
.LBB16_26:                              ; =>This Inner Loop Header: Depth=1
	s_load_dwordx2 s[12:13], s[8:9], 0x4
	s_load_dword s11, s[8:9], 0xc
	s_load_dwordx2 s[14:15], s[6:7], 0x0
	s_add_u32 s8, s8, 12
	s_addc_u32 s9, s9, 0
	s_waitcnt lgkmcnt(0)
	v_mul_hi_u32 v3, s13, v1
	s_add_u32 s6, s6, 8
	s_addc_u32 s7, s7, 0
	s_add_i32 s10, s10, -1
	v_add_u32_e32 v3, v1, v3
	v_lshrrev_b32_e32 v4, s11, v3
	v_mul_lo_u32 v3, v4, s12
	s_cmp_lg_u32 s10, 0
	v_sub_u32_e32 v1, v1, v3
	v_mad_u64_u32 v[24:25], s[12:13], v1, s14, v[24:25]
	v_mad_u64_u32 v[2:3], s[12:13], v1, s15, v[2:3]
	v_mov_b32_e32 v1, v4
	s_cbranch_scc1 .LBB16_26
.LBB16_27:
	s_cbranch_execnz .LBB16_30
.LBB16_28:
	s_load_dwordx4 s[8:11], s[34:35], 0x4
	s_load_dwordx2 s[6:7], s[34:35], 0xc4
	s_cmp_lt_u32 s33, 2
	s_waitcnt lgkmcnt(0)
	v_mul_hi_u32 v1, s9, v22
	v_add_u32_e32 v1, v22, v1
	v_lshrrev_b32_e32 v1, s10, v1
	v_mul_lo_u32 v2, v1, s8
	v_sub_u32_e32 v2, v22, v2
	v_mul_lo_u32 v24, v2, s6
	v_mul_lo_u32 v2, v2, s7
	s_cbranch_scc1 .LBB16_30
; %bb.29:
	s_load_dwordx4 s[8:11], s[34:35], 0x10
	s_load_dwordx2 s[6:7], s[34:35], 0xcc
	s_waitcnt lgkmcnt(0)
	v_mul_hi_u32 v3, s9, v1
	v_add_u32_e32 v3, v1, v3
	v_lshrrev_b32_e32 v3, s10, v3
	v_mul_lo_u32 v3, v3, s8
	v_sub_u32_e32 v1, v1, v3
	v_mad_u64_u32 v[24:25], s[8:9], v1, s6, v[24:25]
	v_mad_u64_u32 v[2:3], s[6:7], v1, s7, v[2:3]
.LBB16_30:
	s_and_b64 vcc, exec, s[4:5]
	v_add_u32_e32 v1, 0x80, v22
	s_cbranch_vccnz .LBB16_36
; %bb.31:
	s_cmp_lg_u32 s33, 0
	s_mov_b32 s30, 0
	s_cbranch_scc0 .LBB16_37
; %bb.32:
	s_min_u32 s31, s58, 15
	s_add_i32 s31, s31, 1
	s_cmp_eq_u32 s58, 2
	s_cbranch_scc1 .LBB16_38
; %bb.33:
	s_and_b32 s30, s31, 28
	s_add_u32 s6, s34, 0xc4
	s_addc_u32 s7, s35, 0
	v_mov_b32_e32 v20, 0
	s_waitcnt lgkmcnt(0)
	s_mov_b32 s36, 0
	s_mov_b64 s[28:29], s[34:35]
	v_mov_b32_e32 v25, 0
	v_mov_b32_e32 v3, v1
.LBB16_34:                              ; =>This Inner Loop Header: Depth=1
	s_load_dwordx8 s[16:23], s[28:29], 0x4
	s_load_dwordx4 s[24:27], s[28:29], 0x24
	s_load_dwordx8 s[8:15], s[6:7], 0x0
	s_add_u32 s28, s28, 48
	s_addc_u32 s29, s29, 0
	s_waitcnt lgkmcnt(0)
	v_mul_hi_u32 v4, s17, v3
	s_add_i32 s36, s36, 4
	s_add_u32 s6, s6, 32
	s_addc_u32 s7, s7, 0
	v_add_u32_e32 v4, v3, v4
	v_lshrrev_b32_e32 v4, s18, v4
	v_mul_lo_u32 v5, v4, s16
	v_mul_hi_u32 v6, s20, v4
	s_cmp_lg_u32 s30, s36
	v_sub_u32_e32 v3, v3, v5
	v_add_u32_e32 v5, v4, v6
	v_mul_lo_u32 v6, v3, s8
	v_mul_lo_u32 v7, v3, s9
	v_lshrrev_b32_e32 v3, s21, v5
	v_mul_lo_u32 v5, v3, s19
	v_mul_hi_u32 v8, s23, v3
	v_sub_u32_e32 v4, v4, v5
	v_add_u32_e32 v5, v3, v8
	v_lshrrev_b32_e32 v5, s24, v5
	v_mul_hi_u32 v9, s26, v5
	v_mul_lo_u32 v10, v5, s22
	v_mul_lo_u32 v8, v4, s10
	;; [unrolled: 1-line block ×3, first 2 shown]
	v_sub_u32_e32 v10, v3, v10
	v_add_u32_e32 v3, v5, v9
	v_lshrrev_b32_e32 v3, s27, v3
	v_mul_lo_u32 v9, v3, s25
	v_mul_lo_u32 v11, v10, s12
	;; [unrolled: 1-line block ×3, first 2 shown]
	v_add3_u32 v6, v6, v25, v8
	v_sub_u32_e32 v5, v5, v9
	v_mul_lo_u32 v9, v5, s14
	v_mul_lo_u32 v5, v5, s15
	v_add3_u32 v4, v7, v20, v4
	v_add3_u32 v25, v11, v6, v9
	;; [unrolled: 1-line block ×3, first 2 shown]
	s_cbranch_scc1 .LBB16_34
; %bb.35:
	s_and_b32 s10, s31, 3
	s_cmp_eq_u32 s10, 0
	s_cbranch_scc0 .LBB16_39
	s_branch .LBB16_41
.LBB16_36:
                                        ; implicit-def: $vgpr25
                                        ; implicit-def: $vgpr20
	s_branch .LBB16_42
.LBB16_37:
	v_mov_b32_e32 v25, 0
	v_mov_b32_e32 v20, 0
	s_branch .LBB16_41
.LBB16_38:
	v_mov_b32_e32 v25, 0
	v_mov_b32_e32 v20, 0
	v_mov_b32_e32 v3, v1
	s_and_b32 s10, s31, 3
	s_cmp_eq_u32 s10, 0
	s_cbranch_scc1 .LBB16_41
.LBB16_39:
	s_lshl_b32 s6, s30, 3
	s_add_u32 s6, s34, s6
	s_addc_u32 s7, s35, 0
	s_add_u32 s6, s6, 0xc4
	s_addc_u32 s7, s7, 0
	s_mul_i32 s8, s30, 12
	s_add_u32 s8, s34, s8
	s_addc_u32 s9, s35, 0
.LBB16_40:                              ; =>This Inner Loop Header: Depth=1
	s_load_dwordx2 s[12:13], s[8:9], 0x4
	s_load_dword s11, s[8:9], 0xc
	s_load_dwordx2 s[14:15], s[6:7], 0x0
	s_add_u32 s8, s8, 12
	s_addc_u32 s9, s9, 0
	s_waitcnt lgkmcnt(0)
	v_mul_hi_u32 v4, s13, v3
	s_add_u32 s6, s6, 8
	s_addc_u32 s7, s7, 0
	s_add_i32 s10, s10, -1
	v_add_u32_e32 v4, v3, v4
	v_lshrrev_b32_e32 v4, s11, v4
	v_mul_lo_u32 v5, v4, s12
	s_cmp_lg_u32 s10, 0
	v_sub_u32_e32 v3, v3, v5
	v_mad_u64_u32 v[25:26], s[12:13], v3, s14, v[25:26]
	v_mad_u64_u32 v[20:21], s[12:13], v3, s15, v[20:21]
	v_mov_b32_e32 v3, v4
	s_cbranch_scc1 .LBB16_40
.LBB16_41:
	s_cbranch_execnz .LBB16_44
.LBB16_42:
	s_load_dwordx4 s[8:11], s[34:35], 0x4
	s_load_dwordx2 s[6:7], s[34:35], 0xc4
	s_cmp_lt_u32 s33, 2
	s_waitcnt lgkmcnt(0)
	v_mul_hi_u32 v3, s9, v1
	v_add_u32_e32 v3, v1, v3
	v_lshrrev_b32_e32 v3, s10, v3
	v_mul_lo_u32 v4, v3, s8
	v_sub_u32_e32 v1, v1, v4
	v_mul_lo_u32 v25, v1, s6
	v_mul_lo_u32 v20, v1, s7
	s_cbranch_scc1 .LBB16_44
; %bb.43:
	s_load_dwordx4 s[8:11], s[34:35], 0x10
	s_load_dwordx2 s[6:7], s[34:35], 0xcc
	s_waitcnt lgkmcnt(0)
	v_mul_hi_u32 v1, s9, v3
	v_add_u32_e32 v1, v3, v1
	v_lshrrev_b32_e32 v1, s10, v1
	v_mul_lo_u32 v1, v1, s8
	v_sub_u32_e32 v1, v3, v1
	v_mad_u64_u32 v[25:26], s[8:9], v1, s6, v[25:26]
	v_mad_u64_u32 v[20:21], s[6:7], v1, s7, v[20:21]
.LBB16_44:
	s_and_b64 vcc, exec, s[4:5]
	v_add_u32_e32 v1, 0x100, v22
	s_cbranch_vccnz .LBB16_50
; %bb.45:
	s_cmp_lg_u32 s33, 0
	s_mov_b32 s30, 0
	s_cbranch_scc0 .LBB16_51
; %bb.46:
	s_min_u32 s31, s58, 15
	s_add_i32 s31, s31, 1
	s_cmp_eq_u32 s58, 2
	s_cbranch_scc1 .LBB16_52
; %bb.47:
	s_and_b32 s30, s31, 28
	s_add_u32 s6, s34, 0xc4
	s_addc_u32 s7, s35, 0
	v_mov_b32_e32 v21, 0
	s_waitcnt lgkmcnt(0)
	s_mov_b32 s36, 0
	s_mov_b64 s[28:29], s[34:35]
	v_mov_b32_e32 v26, 0
	v_mov_b32_e32 v3, v1
.LBB16_48:                              ; =>This Inner Loop Header: Depth=1
	s_load_dwordx8 s[16:23], s[28:29], 0x4
	s_load_dwordx4 s[24:27], s[28:29], 0x24
	s_load_dwordx8 s[8:15], s[6:7], 0x0
	s_add_u32 s28, s28, 48
	s_addc_u32 s29, s29, 0
	s_waitcnt lgkmcnt(0)
	v_mul_hi_u32 v4, s17, v3
	s_add_i32 s36, s36, 4
	s_add_u32 s6, s6, 32
	s_addc_u32 s7, s7, 0
	v_add_u32_e32 v4, v3, v4
	v_lshrrev_b32_e32 v4, s18, v4
	v_mul_lo_u32 v5, v4, s16
	v_mul_hi_u32 v6, s20, v4
	s_cmp_lg_u32 s30, s36
	v_sub_u32_e32 v3, v3, v5
	v_add_u32_e32 v5, v4, v6
	v_mul_lo_u32 v6, v3, s8
	v_mul_lo_u32 v7, v3, s9
	v_lshrrev_b32_e32 v3, s21, v5
	v_mul_lo_u32 v5, v3, s19
	v_mul_hi_u32 v8, s23, v3
	v_sub_u32_e32 v4, v4, v5
	v_add_u32_e32 v5, v3, v8
	v_lshrrev_b32_e32 v5, s24, v5
	v_mul_hi_u32 v9, s26, v5
	v_mul_lo_u32 v10, v5, s22
	v_mul_lo_u32 v8, v4, s10
	;; [unrolled: 1-line block ×3, first 2 shown]
	v_sub_u32_e32 v10, v3, v10
	v_add_u32_e32 v3, v5, v9
	v_lshrrev_b32_e32 v3, s27, v3
	v_mul_lo_u32 v9, v3, s25
	v_mul_lo_u32 v11, v10, s12
	;; [unrolled: 1-line block ×3, first 2 shown]
	v_add3_u32 v6, v6, v26, v8
	v_sub_u32_e32 v5, v5, v9
	v_mul_lo_u32 v9, v5, s14
	v_mul_lo_u32 v5, v5, s15
	v_add3_u32 v4, v7, v21, v4
	v_add3_u32 v26, v11, v6, v9
	;; [unrolled: 1-line block ×3, first 2 shown]
	s_cbranch_scc1 .LBB16_48
; %bb.49:
	s_and_b32 s10, s31, 3
	s_cmp_eq_u32 s10, 0
	s_cbranch_scc0 .LBB16_53
	s_branch .LBB16_55
.LBB16_50:
                                        ; implicit-def: $vgpr26
                                        ; implicit-def: $vgpr21
	s_branch .LBB16_56
.LBB16_51:
	v_mov_b32_e32 v26, 0
	v_mov_b32_e32 v21, 0
	s_branch .LBB16_55
.LBB16_52:
	v_mov_b32_e32 v26, 0
	v_mov_b32_e32 v21, 0
	v_mov_b32_e32 v3, v1
	s_and_b32 s10, s31, 3
	s_cmp_eq_u32 s10, 0
	s_cbranch_scc1 .LBB16_55
.LBB16_53:
	s_lshl_b32 s6, s30, 3
	s_add_u32 s6, s34, s6
	s_addc_u32 s7, s35, 0
	s_add_u32 s6, s6, 0xc4
	s_addc_u32 s7, s7, 0
	s_mul_i32 s8, s30, 12
	s_add_u32 s8, s34, s8
	s_addc_u32 s9, s35, 0
.LBB16_54:                              ; =>This Inner Loop Header: Depth=1
	s_load_dwordx2 s[12:13], s[8:9], 0x4
	s_load_dword s11, s[8:9], 0xc
	s_load_dwordx2 s[14:15], s[6:7], 0x0
	s_add_u32 s8, s8, 12
	s_addc_u32 s9, s9, 0
	s_waitcnt lgkmcnt(0)
	v_mul_hi_u32 v4, s13, v3
	s_add_u32 s6, s6, 8
	s_addc_u32 s7, s7, 0
	s_add_i32 s10, s10, -1
	v_add_u32_e32 v4, v3, v4
	v_lshrrev_b32_e32 v4, s11, v4
	v_mul_lo_u32 v5, v4, s12
	s_cmp_lg_u32 s10, 0
	v_sub_u32_e32 v3, v3, v5
	v_mad_u64_u32 v[26:27], s[12:13], v3, s14, v[26:27]
	v_mad_u64_u32 v[21:22], s[12:13], v3, s15, v[21:22]
	v_mov_b32_e32 v3, v4
	s_cbranch_scc1 .LBB16_54
.LBB16_55:
	s_cbranch_execnz .LBB16_58
.LBB16_56:
	s_load_dwordx4 s[8:11], s[34:35], 0x4
	s_load_dwordx2 s[6:7], s[34:35], 0xc4
	s_cmp_lt_u32 s33, 2
	s_waitcnt lgkmcnt(0)
	v_mul_hi_u32 v3, s9, v1
	v_add_u32_e32 v3, v1, v3
	v_lshrrev_b32_e32 v3, s10, v3
	v_mul_lo_u32 v4, v3, s8
	v_sub_u32_e32 v1, v1, v4
	v_mul_lo_u32 v26, v1, s6
	v_mul_lo_u32 v21, v1, s7
	s_cbranch_scc1 .LBB16_58
; %bb.57:
	s_load_dwordx4 s[8:11], s[34:35], 0x10
	s_load_dwordx2 s[6:7], s[34:35], 0xcc
	s_waitcnt lgkmcnt(0)
	v_mul_hi_u32 v1, s9, v3
	v_add_u32_e32 v1, v3, v1
	v_lshrrev_b32_e32 v1, s10, v1
	v_mul_lo_u32 v1, v1, s8
	v_sub_u32_e32 v1, v3, v1
	v_mad_u64_u32 v[26:27], s[8:9], v1, s6, v[26:27]
	v_mad_u64_u32 v[21:22], s[6:7], v1, s7, v[21:22]
.LBB16_58:
	s_and_b64 vcc, exec, s[4:5]
	s_cbranch_vccnz .LBB16_64
; %bb.59:
	s_cmp_lg_u32 s33, 0
	s_mov_b32 s28, 0
	s_cbranch_scc0 .LBB16_65
; %bb.60:
	s_min_u32 s29, s58, 15
	s_add_i32 s29, s29, 1
	s_cmp_eq_u32 s58, 2
	s_cbranch_scc1 .LBB16_66
; %bb.61:
	s_and_b32 s28, s29, 28
	s_waitcnt lgkmcnt(0)
	s_add_u32 s24, s34, 0xc4
	s_addc_u32 s25, s35, 0
	v_mov_b32_e32 v22, 0
	s_mov_b32 s30, 0
	s_mov_b64 s[26:27], s[34:35]
	v_mov_b32_e32 v27, 0
	v_mov_b32_e32 v1, v0
.LBB16_62:                              ; =>This Inner Loop Header: Depth=1
	s_load_dwordx8 s[12:19], s[26:27], 0x4
	s_load_dwordx4 s[20:23], s[26:27], 0x24
	s_load_dwordx8 s[4:11], s[24:25], 0x0
	s_add_u32 s26, s26, 48
	s_addc_u32 s27, s27, 0
	s_waitcnt lgkmcnt(0)
	v_mul_hi_u32 v3, s13, v1
	s_add_i32 s30, s30, 4
	s_add_u32 s24, s24, 32
	s_addc_u32 s25, s25, 0
	v_add_u32_e32 v3, v1, v3
	v_lshrrev_b32_e32 v3, s14, v3
	v_mul_lo_u32 v4, v3, s12
	v_mul_hi_u32 v5, s16, v3
	s_cmp_lg_u32 s28, s30
	v_sub_u32_e32 v1, v1, v4
	v_add_u32_e32 v4, v3, v5
	v_mul_lo_u32 v5, v1, s4
	v_mul_lo_u32 v6, v1, s5
	v_lshrrev_b32_e32 v1, s17, v4
	v_mul_lo_u32 v4, v1, s15
	v_mul_hi_u32 v7, s19, v1
	v_sub_u32_e32 v3, v3, v4
	v_add_u32_e32 v4, v1, v7
	v_lshrrev_b32_e32 v4, s20, v4
	v_mul_hi_u32 v8, s22, v4
	v_mul_lo_u32 v9, v4, s18
	v_mul_lo_u32 v7, v3, s6
	;; [unrolled: 1-line block ×3, first 2 shown]
	v_sub_u32_e32 v9, v1, v9
	v_add_u32_e32 v1, v4, v8
	v_lshrrev_b32_e32 v1, s23, v1
	v_mul_lo_u32 v8, v1, s21
	v_mul_lo_u32 v10, v9, s8
	;; [unrolled: 1-line block ×3, first 2 shown]
	v_add3_u32 v5, v5, v27, v7
	v_sub_u32_e32 v4, v4, v8
	v_mul_lo_u32 v8, v4, s10
	v_mul_lo_u32 v4, v4, s11
	v_add3_u32 v3, v6, v22, v3
	v_add3_u32 v27, v10, v5, v8
	;; [unrolled: 1-line block ×3, first 2 shown]
	s_cbranch_scc1 .LBB16_62
; %bb.63:
	s_and_b32 s8, s29, 3
	s_cmp_eq_u32 s8, 0
	s_cbranch_scc0 .LBB16_67
	s_branch .LBB16_69
.LBB16_64:
                                        ; implicit-def: $vgpr27
                                        ; implicit-def: $vgpr22
	s_branch .LBB16_70
.LBB16_65:
	v_mov_b32_e32 v27, 0
	v_mov_b32_e32 v22, 0
	s_branch .LBB16_69
.LBB16_66:
	v_mov_b32_e32 v27, 0
	v_mov_b32_e32 v22, 0
	;; [unrolled: 1-line block ×3, first 2 shown]
	s_and_b32 s8, s29, 3
	s_cmp_eq_u32 s8, 0
	s_cbranch_scc1 .LBB16_69
.LBB16_67:
	s_lshl_b32 s4, s28, 3
	s_add_u32 s4, s34, s4
	s_addc_u32 s5, s35, 0
	s_add_u32 s4, s4, 0xc4
	s_addc_u32 s5, s5, 0
	s_mul_i32 s6, s28, 12
	s_add_u32 s6, s34, s6
	s_addc_u32 s7, s35, 0
.LBB16_68:                              ; =>This Inner Loop Header: Depth=1
	s_load_dwordx2 s[10:11], s[6:7], 0x4
	s_load_dword s9, s[6:7], 0xc
	s_load_dwordx2 s[12:13], s[4:5], 0x0
	s_add_u32 s6, s6, 12
	s_addc_u32 s7, s7, 0
	s_waitcnt lgkmcnt(0)
	v_mul_hi_u32 v3, s11, v1
	s_add_u32 s4, s4, 8
	s_addc_u32 s5, s5, 0
	s_add_i32 s8, s8, -1
	v_add_u32_e32 v3, v1, v3
	v_lshrrev_b32_e32 v3, s9, v3
	v_mul_lo_u32 v4, v3, s10
	s_cmp_lg_u32 s8, 0
	v_sub_u32_e32 v1, v1, v4
	v_mad_u64_u32 v[27:28], s[10:11], v1, s12, v[27:28]
	v_mad_u64_u32 v[22:23], s[10:11], v1, s13, v[22:23]
	v_mov_b32_e32 v1, v3
	s_cbranch_scc1 .LBB16_68
.LBB16_69:
	s_cbranch_execnz .LBB16_72
.LBB16_70:
	s_load_dwordx4 s[4:7], s[34:35], 0x4
	s_load_dwordx2 s[8:9], s[34:35], 0xc4
	s_cmp_lt_u32 s33, 2
	s_waitcnt lgkmcnt(0)
	v_mul_hi_u32 v1, s5, v0
	v_add_u32_e32 v1, v0, v1
	v_lshrrev_b32_e32 v1, s6, v1
	v_mul_lo_u32 v3, v1, s4
	v_sub_u32_e32 v0, v0, v3
	v_mul_lo_u32 v27, v0, s8
	v_mul_lo_u32 v22, v0, s9
	s_cbranch_scc1 .LBB16_72
; %bb.71:
	s_load_dwordx4 s[4:7], s[34:35], 0x10
	s_load_dwordx2 s[8:9], s[34:35], 0xcc
	s_waitcnt lgkmcnt(0)
	v_mul_hi_u32 v0, s5, v1
	v_add_u32_e32 v0, v1, v0
	v_lshrrev_b32_e32 v0, s6, v0
	v_mul_lo_u32 v0, v0, s4
	v_sub_u32_e32 v0, v1, v0
	v_mad_u64_u32 v[27:28], s[4:5], v0, s8, v[27:28]
	v_mad_u64_u32 v[22:23], s[4:5], v0, s9, v[22:23]
.LBB16_72:
	s_waitcnt lgkmcnt(0)
	s_load_dwordx4 s[20:23], s[34:35], 0x148
	s_getpc_b64 s[18:19]
	s_add_u32 s18, s18, _ZN2at6native6invokeIZZZNS0_12_GLOBAL__N_121bessel_j1_kernel_cudaERNS_18TensorIteratorBaseEENKUlvE_clEvENKUlvE0_clEvEUlfE_j15function_traitsIS7_EEENT1_11result_typeERKT_PrKPcPKT0_i@rel32@lo+4
	s_addc_u32 s19, s19, _ZN2at6native6invokeIZZZNS0_12_GLOBAL__N_121bessel_j1_kernel_cudaERNS_18TensorIteratorBaseEENKUlvE_clEvENKUlvE0_clEvEUlfE_j15function_traitsIS7_EEENT1_11result_typeERKT_PrKPcPKT0_i@rel32@hi+12
	s_waitcnt lgkmcnt(0)
	v_mov_b32_e32 v0, s22
	v_mov_b32_e32 v1, s23
	s_swappc_b64 s[30:31], s[18:19]
	v_mov_b32_e32 v23, v0
	v_mov_b32_e32 v0, s22
	v_mov_b32_e32 v1, s23
	v_mov_b32_e32 v2, v20
	s_swappc_b64 s[30:31], s[18:19]
	v_mov_b32_e32 v20, v0
	v_mov_b32_e32 v0, s22
	;; [unrolled: 5-line block ×3, first 2 shown]
	v_mov_b32_e32 v1, s23
	v_mov_b32_e32 v2, v22
	s_swappc_b64 s[30:31], s[18:19]
	global_store_dword v24, v23, s[20:21]
	global_store_dword v25, v20, s[20:21]
	;; [unrolled: 1-line block ×4, first 2 shown]
	s_endpgm
.LBB16_73:
	v_mov_b32_e32 v20, 0
	v_mov_b32_e32 v2, 0
	s_branch .LBB16_79
.LBB16_74:
	v_mov_b32_e32 v20, 0
	v_mov_b32_e32 v2, 0
	s_branch .LBB16_95
.LBB16_75:
	s_mov_b32 s61, 0
	v_mov_b32_e32 v20, 0
	v_mov_b32_e32 v2, 0
	;; [unrolled: 1-line block ×3, first 2 shown]
.LBB16_76:
	s_and_b32 s8, s62, 3
	s_cmp_eq_u32 s8, 0
	s_cbranch_scc1 .LBB16_79
; %bb.77:
	s_lshl_b32 s4, s61, 3
	s_add_u32 s4, s34, s4
	s_addc_u32 s5, s35, 0
	s_add_u32 s4, s4, 0xc4
	s_addc_u32 s5, s5, 0
	s_mul_i32 s6, s61, 12
	s_add_u32 s6, s34, s6
	s_addc_u32 s7, s35, 0
.LBB16_78:                              ; =>This Inner Loop Header: Depth=1
	s_load_dwordx2 s[10:11], s[6:7], 0x4
	s_load_dword s9, s[6:7], 0xc
	s_load_dwordx2 s[12:13], s[4:5], 0x0
	s_add_u32 s6, s6, 12
	s_addc_u32 s7, s7, 0
	s_waitcnt lgkmcnt(0)
	v_mul_hi_u32 v1, s11, v0
	s_add_u32 s4, s4, 8
	s_addc_u32 s5, s5, 0
	s_add_i32 s8, s8, -1
	v_add_u32_e32 v1, v0, v1
	v_lshrrev_b32_e32 v1, s9, v1
	v_mul_lo_u32 v3, v1, s10
	s_cmp_lg_u32 s8, 0
	v_sub_u32_e32 v0, v0, v3
	v_mad_u64_u32 v[20:21], s[10:11], v0, s12, v[20:21]
	v_mad_u64_u32 v[2:3], s[10:11], v0, s13, v[2:3]
	v_mov_b32_e32 v0, v1
	s_cbranch_scc1 .LBB16_78
.LBB16_79:
	s_cbranch_execnz .LBB16_82
.LBB16_80:
	s_waitcnt lgkmcnt(0)
	v_mul_hi_u32 v0, s37, v22
	s_andn2_b64 vcc, exec, s[46:47]
	v_add_u32_e32 v0, v22, v0
	v_lshrrev_b32_e32 v0, s38, v0
	v_mul_lo_u32 v1, v0, s36
	v_sub_u32_e32 v1, v22, v1
	v_mul_lo_u32 v20, v1, s24
	v_mul_lo_u32 v2, v1, s25
	s_cbranch_vccnz .LBB16_82
; %bb.81:
	v_mul_hi_u32 v1, s44, v0
	v_add_u32_e32 v1, v0, v1
	v_lshrrev_b32_e32 v1, s45, v1
	v_mul_lo_u32 v1, v1, s39
	v_sub_u32_e32 v0, v0, v1
	v_mad_u64_u32 v[20:21], s[4:5], v0, s26, v[20:21]
	v_mad_u64_u32 v[2:3], s[4:5], v0, s27, v[2:3]
.LBB16_82:
	s_getpc_b64 s[4:5]
	s_add_u32 s4, s4, _ZN2at6native6invokeIZZZNS0_12_GLOBAL__N_121bessel_j1_kernel_cudaERNS_18TensorIteratorBaseEENKUlvE_clEvENKUlvE0_clEvEUlfE_j15function_traitsIS7_EEENT1_11result_typeERKT_PrKPcPKT0_i@rel32@lo+4
	s_addc_u32 s5, s5, _ZN2at6native6invokeIZZZNS0_12_GLOBAL__N_121bessel_j1_kernel_cudaERNS_18TensorIteratorBaseEENKUlvE_clEvENKUlvE0_clEvEUlfE_j15function_traitsIS7_EEENT1_11result_typeERKT_PrKPcPKT0_i@rel32@hi+12
	s_waitcnt lgkmcnt(0)
	v_mov_b32_e32 v0, s22
	v_mov_b32_e32 v1, s23
	s_swappc_b64 s[30:31], s[4:5]
	v_add_u32_e32 v22, 0x80, v22
	global_store_dword v20, v0, s[20:21]
	s_or_b64 exec, exec, s[52:53]
	v_cmp_gt_i32_e32 vcc, s59, v22
	s_and_saveexec_b64 s[52:53], vcc
	s_cbranch_execnz .LBB16_15
.LBB16_83:
	s_or_b64 exec, exec, s[52:53]
	v_cmp_gt_i32_e32 vcc, s59, v22
	s_and_saveexec_b64 s[52:53], vcc
	s_cbranch_execz .LBB16_99
.LBB16_84:
	s_andn2_b64 vcc, exec, s[40:41]
	s_cbranch_vccnz .LBB16_89
; %bb.85:
	s_andn2_b64 vcc, exec, s[50:51]
	s_cbranch_vccnz .LBB16_90
; %bb.86:
	s_add_i32 s62, s60, 1
	s_cmp_eq_u32 s58, 2
	s_cbranch_scc1 .LBB16_102
; %bb.87:
	s_and_b32 s61, s62, 28
	v_mov_b32_e32 v2, 0
	s_mov_b32 s63, 0
	s_mov_b64 s[54:55], s[34:35]
	s_mov_b64 s[56:57], s[48:49]
	v_mov_b32_e32 v20, 0
	v_mov_b32_e32 v0, v22
.LBB16_88:                              ; =>This Inner Loop Header: Depth=1
	s_load_dwordx8 s[12:19], s[54:55], 0x4
	s_load_dwordx4 s[28:31], s[54:55], 0x24
	s_load_dwordx8 s[4:11], s[56:57], 0x0
	s_add_u32 s54, s54, 48
	s_addc_u32 s55, s55, 0
	s_waitcnt lgkmcnt(0)
	v_mul_hi_u32 v1, s13, v0
	s_add_i32 s63, s63, 4
	s_add_u32 s56, s56, 32
	s_addc_u32 s57, s57, 0
	v_add_u32_e32 v1, v0, v1
	v_lshrrev_b32_e32 v1, s14, v1
	v_mul_lo_u32 v3, v1, s12
	v_mul_hi_u32 v4, s16, v1
	s_cmp_eq_u32 s61, s63
	v_sub_u32_e32 v0, v0, v3
	v_add_u32_e32 v3, v1, v4
	v_mul_lo_u32 v4, v0, s4
	v_mul_lo_u32 v5, v0, s5
	v_lshrrev_b32_e32 v0, s17, v3
	v_mul_lo_u32 v3, v0, s15
	v_mul_hi_u32 v6, s19, v0
	v_sub_u32_e32 v1, v1, v3
	v_add_u32_e32 v3, v0, v6
	v_lshrrev_b32_e32 v3, s28, v3
	v_mul_hi_u32 v7, s30, v3
	v_mul_lo_u32 v8, v3, s18
	v_mul_lo_u32 v6, v1, s6
	;; [unrolled: 1-line block ×3, first 2 shown]
	v_sub_u32_e32 v8, v0, v8
	v_add_u32_e32 v0, v3, v7
	v_lshrrev_b32_e32 v0, s31, v0
	v_mul_lo_u32 v7, v0, s29
	v_mul_lo_u32 v9, v8, s8
	;; [unrolled: 1-line block ×3, first 2 shown]
	v_add3_u32 v4, v4, v20, v6
	v_sub_u32_e32 v3, v3, v7
	v_mul_lo_u32 v7, v3, s10
	v_mul_lo_u32 v3, v3, s11
	v_add3_u32 v1, v5, v2, v1
	v_add3_u32 v20, v9, v4, v7
	;; [unrolled: 1-line block ×3, first 2 shown]
	s_cbranch_scc0 .LBB16_88
	s_branch .LBB16_103
.LBB16_89:
                                        ; implicit-def: $vgpr20
                                        ; implicit-def: $vgpr2
	s_branch .LBB16_107
.LBB16_90:
	v_mov_b32_e32 v20, 0
	v_mov_b32_e32 v2, 0
	s_branch .LBB16_106
.LBB16_91:
	s_mov_b32 s61, 0
	v_mov_b32_e32 v20, 0
	v_mov_b32_e32 v2, 0
	;; [unrolled: 1-line block ×3, first 2 shown]
.LBB16_92:
	s_and_b32 s8, s62, 3
	s_cmp_eq_u32 s8, 0
	s_cbranch_scc1 .LBB16_95
; %bb.93:
	s_lshl_b32 s4, s61, 3
	s_add_u32 s4, s34, s4
	s_addc_u32 s5, s35, 0
	s_add_u32 s4, s4, 0xc4
	s_addc_u32 s5, s5, 0
	s_mul_i32 s6, s61, 12
	s_add_u32 s6, s34, s6
	s_addc_u32 s7, s35, 0
.LBB16_94:                              ; =>This Inner Loop Header: Depth=1
	s_load_dwordx2 s[10:11], s[6:7], 0x4
	s_load_dword s9, s[6:7], 0xc
	s_load_dwordx2 s[12:13], s[4:5], 0x0
	s_add_u32 s6, s6, 12
	s_addc_u32 s7, s7, 0
	s_waitcnt lgkmcnt(0)
	v_mul_hi_u32 v1, s11, v0
	s_add_u32 s4, s4, 8
	s_addc_u32 s5, s5, 0
	s_add_i32 s8, s8, -1
	v_add_u32_e32 v1, v0, v1
	v_lshrrev_b32_e32 v1, s9, v1
	v_mul_lo_u32 v3, v1, s10
	s_cmp_lg_u32 s8, 0
	v_sub_u32_e32 v0, v0, v3
	v_mad_u64_u32 v[20:21], s[10:11], v0, s12, v[20:21]
	v_mad_u64_u32 v[2:3], s[10:11], v0, s13, v[2:3]
	v_mov_b32_e32 v0, v1
	s_cbranch_scc1 .LBB16_94
.LBB16_95:
	s_cbranch_execnz .LBB16_98
.LBB16_96:
	s_waitcnt lgkmcnt(0)
	v_mul_hi_u32 v0, s37, v22
	s_andn2_b64 vcc, exec, s[46:47]
	v_add_u32_e32 v0, v22, v0
	v_lshrrev_b32_e32 v0, s38, v0
	v_mul_lo_u32 v1, v0, s36
	v_sub_u32_e32 v1, v22, v1
	v_mul_lo_u32 v20, v1, s24
	v_mul_lo_u32 v2, v1, s25
	s_cbranch_vccnz .LBB16_98
; %bb.97:
	v_mul_hi_u32 v1, s44, v0
	v_add_u32_e32 v1, v0, v1
	v_lshrrev_b32_e32 v1, s45, v1
	v_mul_lo_u32 v1, v1, s39
	v_sub_u32_e32 v0, v0, v1
	v_mad_u64_u32 v[20:21], s[4:5], v0, s26, v[20:21]
	v_mad_u64_u32 v[2:3], s[4:5], v0, s27, v[2:3]
.LBB16_98:
	s_getpc_b64 s[4:5]
	s_add_u32 s4, s4, _ZN2at6native6invokeIZZZNS0_12_GLOBAL__N_121bessel_j1_kernel_cudaERNS_18TensorIteratorBaseEENKUlvE_clEvENKUlvE0_clEvEUlfE_j15function_traitsIS7_EEENT1_11result_typeERKT_PrKPcPKT0_i@rel32@lo+4
	s_addc_u32 s5, s5, _ZN2at6native6invokeIZZZNS0_12_GLOBAL__N_121bessel_j1_kernel_cudaERNS_18TensorIteratorBaseEENKUlvE_clEvENKUlvE0_clEvEUlfE_j15function_traitsIS7_EEENT1_11result_typeERKT_PrKPcPKT0_i@rel32@hi+12
	s_waitcnt lgkmcnt(0)
	v_mov_b32_e32 v0, s22
	v_mov_b32_e32 v1, s23
	s_swappc_b64 s[30:31], s[4:5]
	v_add_u32_e32 v22, 0x80, v22
	global_store_dword v20, v0, s[20:21]
	s_or_b64 exec, exec, s[52:53]
	v_cmp_gt_i32_e32 vcc, s59, v22
	s_and_saveexec_b64 s[52:53], vcc
	s_cbranch_execnz .LBB16_84
.LBB16_99:
	s_or_b64 exec, exec, s[52:53]
	v_cmp_gt_i32_e32 vcc, s59, v22
	s_and_saveexec_b64 s[52:53], vcc
	s_cbranch_execnz .LBB16_110
.LBB16_100:
	s_or_b64 exec, exec, s[52:53]
                                        ; implicit-def: $vgpr0
                                        ; implicit-def: $vgpr22
	s_andn2_saveexec_b64 s[4:5], s[42:43]
	s_cbranch_execnz .LBB16_8
.LBB16_101:
	s_endpgm
.LBB16_102:
	s_mov_b32 s61, 0
	v_mov_b32_e32 v20, 0
	v_mov_b32_e32 v2, 0
	;; [unrolled: 1-line block ×3, first 2 shown]
.LBB16_103:
	s_and_b32 s8, s62, 3
	s_cmp_eq_u32 s8, 0
	s_cbranch_scc1 .LBB16_106
; %bb.104:
	s_lshl_b32 s4, s61, 3
	s_add_u32 s4, s34, s4
	s_addc_u32 s5, s35, 0
	s_add_u32 s4, s4, 0xc4
	s_addc_u32 s5, s5, 0
	s_mul_i32 s6, s61, 12
	s_add_u32 s6, s34, s6
	s_addc_u32 s7, s35, 0
.LBB16_105:                             ; =>This Inner Loop Header: Depth=1
	s_load_dwordx2 s[10:11], s[6:7], 0x4
	s_load_dword s9, s[6:7], 0xc
	s_load_dwordx2 s[12:13], s[4:5], 0x0
	s_add_u32 s6, s6, 12
	s_addc_u32 s7, s7, 0
	s_waitcnt lgkmcnt(0)
	v_mul_hi_u32 v1, s11, v0
	s_add_u32 s4, s4, 8
	s_addc_u32 s5, s5, 0
	s_add_i32 s8, s8, -1
	v_add_u32_e32 v1, v0, v1
	v_lshrrev_b32_e32 v1, s9, v1
	v_mul_lo_u32 v3, v1, s10
	s_cmp_lg_u32 s8, 0
	v_sub_u32_e32 v0, v0, v3
	v_mad_u64_u32 v[20:21], s[10:11], v0, s12, v[20:21]
	v_mad_u64_u32 v[2:3], s[10:11], v0, s13, v[2:3]
	v_mov_b32_e32 v0, v1
	s_cbranch_scc1 .LBB16_105
.LBB16_106:
	s_cbranch_execnz .LBB16_109
.LBB16_107:
	s_waitcnt lgkmcnt(0)
	v_mul_hi_u32 v0, s37, v22
	s_andn2_b64 vcc, exec, s[46:47]
	v_add_u32_e32 v0, v22, v0
	v_lshrrev_b32_e32 v0, s38, v0
	v_mul_lo_u32 v1, v0, s36
	v_sub_u32_e32 v1, v22, v1
	v_mul_lo_u32 v20, v1, s24
	v_mul_lo_u32 v2, v1, s25
	s_cbranch_vccnz .LBB16_109
; %bb.108:
	v_mul_hi_u32 v1, s44, v0
	v_add_u32_e32 v1, v0, v1
	v_lshrrev_b32_e32 v1, s45, v1
	v_mul_lo_u32 v1, v1, s39
	v_sub_u32_e32 v0, v0, v1
	v_mad_u64_u32 v[20:21], s[4:5], v0, s26, v[20:21]
	v_mad_u64_u32 v[2:3], s[4:5], v0, s27, v[2:3]
.LBB16_109:
	s_getpc_b64 s[4:5]
	s_add_u32 s4, s4, _ZN2at6native6invokeIZZZNS0_12_GLOBAL__N_121bessel_j1_kernel_cudaERNS_18TensorIteratorBaseEENKUlvE_clEvENKUlvE0_clEvEUlfE_j15function_traitsIS7_EEENT1_11result_typeERKT_PrKPcPKT0_i@rel32@lo+4
	s_addc_u32 s5, s5, _ZN2at6native6invokeIZZZNS0_12_GLOBAL__N_121bessel_j1_kernel_cudaERNS_18TensorIteratorBaseEENKUlvE_clEvENKUlvE0_clEvEUlfE_j15function_traitsIS7_EEENT1_11result_typeERKT_PrKPcPKT0_i@rel32@hi+12
	s_waitcnt lgkmcnt(0)
	v_mov_b32_e32 v0, s22
	v_mov_b32_e32 v1, s23
	s_swappc_b64 s[30:31], s[4:5]
	v_add_u32_e32 v22, 0x80, v22
	global_store_dword v20, v0, s[20:21]
	s_or_b64 exec, exec, s[52:53]
	v_cmp_gt_i32_e32 vcc, s59, v22
	s_and_saveexec_b64 s[52:53], vcc
	s_cbranch_execz .LBB16_100
.LBB16_110:
	s_andn2_b64 vcc, exec, s[40:41]
	s_cbranch_vccnz .LBB16_115
; %bb.111:
	s_andn2_b64 vcc, exec, s[50:51]
	s_cbranch_vccnz .LBB16_116
; %bb.112:
	s_add_i32 s60, s60, 1
	s_cmp_eq_u32 s58, 2
	s_cbranch_scc1 .LBB16_117
; %bb.113:
	s_and_b32 s54, s60, 28
	v_mov_b32_e32 v2, 0
	s_mov_b32 s55, 0
	s_mov_b64 s[50:51], s[34:35]
	v_mov_b32_e32 v20, 0
	v_mov_b32_e32 v0, v22
.LBB16_114:                             ; =>This Inner Loop Header: Depth=1
	s_load_dwordx8 s[12:19], s[50:51], 0x4
	s_load_dwordx4 s[28:31], s[50:51], 0x24
	s_load_dwordx8 s[4:11], s[48:49], 0x0
	s_add_u32 s50, s50, 48
	s_addc_u32 s51, s51, 0
	s_waitcnt lgkmcnt(0)
	v_mul_hi_u32 v1, s13, v0
	s_add_i32 s55, s55, 4
	s_add_u32 s48, s48, 32
	s_addc_u32 s49, s49, 0
	v_add_u32_e32 v1, v0, v1
	v_lshrrev_b32_e32 v1, s14, v1
	v_mul_lo_u32 v3, v1, s12
	v_mul_hi_u32 v4, s16, v1
	s_cmp_eq_u32 s54, s55
	v_sub_u32_e32 v0, v0, v3
	v_add_u32_e32 v3, v1, v4
	v_mul_lo_u32 v4, v0, s4
	v_mul_lo_u32 v5, v0, s5
	v_lshrrev_b32_e32 v0, s17, v3
	v_mul_lo_u32 v3, v0, s15
	v_mul_hi_u32 v6, s19, v0
	v_sub_u32_e32 v1, v1, v3
	v_add_u32_e32 v3, v0, v6
	v_lshrrev_b32_e32 v3, s28, v3
	v_mul_hi_u32 v7, s30, v3
	v_mul_lo_u32 v8, v3, s18
	v_mul_lo_u32 v6, v1, s6
	;; [unrolled: 1-line block ×3, first 2 shown]
	v_sub_u32_e32 v8, v0, v8
	v_add_u32_e32 v0, v3, v7
	v_lshrrev_b32_e32 v0, s31, v0
	v_mul_lo_u32 v7, v0, s29
	v_mul_lo_u32 v9, v8, s8
	;; [unrolled: 1-line block ×3, first 2 shown]
	v_add3_u32 v4, v4, v20, v6
	v_sub_u32_e32 v3, v3, v7
	v_mul_lo_u32 v7, v3, s10
	v_mul_lo_u32 v3, v3, s11
	v_add3_u32 v1, v5, v2, v1
	v_add3_u32 v20, v9, v4, v7
	;; [unrolled: 1-line block ×3, first 2 shown]
	s_cbranch_scc0 .LBB16_114
	s_branch .LBB16_118
.LBB16_115:
                                        ; implicit-def: $vgpr20
                                        ; implicit-def: $vgpr2
	s_branch .LBB16_122
.LBB16_116:
	v_mov_b32_e32 v20, 0
	v_mov_b32_e32 v2, 0
	s_branch .LBB16_121
.LBB16_117:
	s_mov_b32 s54, 0
	v_mov_b32_e32 v20, 0
	v_mov_b32_e32 v2, 0
	;; [unrolled: 1-line block ×3, first 2 shown]
.LBB16_118:
	s_and_b32 s8, s60, 3
	s_cmp_eq_u32 s8, 0
	s_cbranch_scc1 .LBB16_121
; %bb.119:
	s_lshl_b32 s4, s54, 3
	s_add_u32 s4, s34, s4
	s_addc_u32 s5, s35, 0
	s_add_u32 s4, s4, 0xc4
	s_addc_u32 s5, s5, 0
	s_mul_i32 s6, s54, 12
	s_add_u32 s6, s34, s6
	s_addc_u32 s7, s35, 0
.LBB16_120:                             ; =>This Inner Loop Header: Depth=1
	s_load_dwordx2 s[10:11], s[6:7], 0x4
	s_load_dword s9, s[6:7], 0xc
	s_load_dwordx2 s[12:13], s[4:5], 0x0
	s_add_u32 s6, s6, 12
	s_addc_u32 s7, s7, 0
	s_waitcnt lgkmcnt(0)
	v_mul_hi_u32 v1, s11, v0
	s_add_u32 s4, s4, 8
	s_addc_u32 s5, s5, 0
	s_add_i32 s8, s8, -1
	v_add_u32_e32 v1, v0, v1
	v_lshrrev_b32_e32 v1, s9, v1
	v_mul_lo_u32 v3, v1, s10
	s_cmp_lg_u32 s8, 0
	v_sub_u32_e32 v0, v0, v3
	v_mad_u64_u32 v[20:21], s[10:11], v0, s12, v[20:21]
	v_mad_u64_u32 v[2:3], s[10:11], v0, s13, v[2:3]
	v_mov_b32_e32 v0, v1
	s_cbranch_scc1 .LBB16_120
.LBB16_121:
	s_cbranch_execnz .LBB16_124
.LBB16_122:
	s_waitcnt lgkmcnt(0)
	v_mul_hi_u32 v0, s37, v22
	s_andn2_b64 vcc, exec, s[46:47]
	v_add_u32_e32 v0, v22, v0
	v_lshrrev_b32_e32 v0, s38, v0
	v_mul_lo_u32 v1, v0, s36
	v_sub_u32_e32 v1, v22, v1
	v_mul_lo_u32 v20, v1, s24
	v_mul_lo_u32 v2, v1, s25
	s_cbranch_vccnz .LBB16_124
; %bb.123:
	v_mul_hi_u32 v1, s44, v0
	v_add_u32_e32 v1, v0, v1
	v_lshrrev_b32_e32 v1, s45, v1
	v_mul_lo_u32 v1, v1, s39
	v_sub_u32_e32 v0, v0, v1
	v_mad_u64_u32 v[20:21], s[4:5], v0, s26, v[20:21]
	v_mad_u64_u32 v[2:3], s[4:5], v0, s27, v[2:3]
.LBB16_124:
	s_getpc_b64 s[4:5]
	s_add_u32 s4, s4, _ZN2at6native6invokeIZZZNS0_12_GLOBAL__N_121bessel_j1_kernel_cudaERNS_18TensorIteratorBaseEENKUlvE_clEvENKUlvE0_clEvEUlfE_j15function_traitsIS7_EEENT1_11result_typeERKT_PrKPcPKT0_i@rel32@lo+4
	s_addc_u32 s5, s5, _ZN2at6native6invokeIZZZNS0_12_GLOBAL__N_121bessel_j1_kernel_cudaERNS_18TensorIteratorBaseEENKUlvE_clEvENKUlvE0_clEvEUlfE_j15function_traitsIS7_EEENT1_11result_typeERKT_PrKPcPKT0_i@rel32@hi+12
	s_waitcnt lgkmcnt(0)
	v_mov_b32_e32 v0, s22
	v_mov_b32_e32 v1, s23
	s_swappc_b64 s[30:31], s[4:5]
	global_store_dword v20, v0, s[20:21]
	s_or_b64 exec, exec, s[52:53]
                                        ; implicit-def: $vgpr0
                                        ; implicit-def: $vgpr22
	s_andn2_saveexec_b64 s[4:5], s[42:43]
	s_cbranch_execz .LBB16_101
	s_branch .LBB16_8
	.section	.rodata,"a",@progbits
	.p2align	6, 0x0
	.amdhsa_kernel _ZN2at6native32elementwise_kernel_manual_unrollILi128ELi4EZNS0_22gpu_kernel_impl_nocastIZZZNS0_12_GLOBAL__N_121bessel_j1_kernel_cudaERNS_18TensorIteratorBaseEENKUlvE_clEvENKUlvE0_clEvEUlfE_EEvS5_RKT_EUlibE_EEviT1_
		.amdhsa_group_segment_fixed_size 0
		.amdhsa_private_segment_fixed_size 0
		.amdhsa_kernarg_size 360
		.amdhsa_user_sgpr_count 6
		.amdhsa_user_sgpr_private_segment_buffer 1
		.amdhsa_user_sgpr_dispatch_ptr 0
		.amdhsa_user_sgpr_queue_ptr 0
		.amdhsa_user_sgpr_kernarg_segment_ptr 1
		.amdhsa_user_sgpr_dispatch_id 0
		.amdhsa_user_sgpr_flat_scratch_init 0
		.amdhsa_user_sgpr_private_segment_size 0
		.amdhsa_uses_dynamic_stack 0
		.amdhsa_system_sgpr_private_segment_wavefront_offset 0
		.amdhsa_system_sgpr_workgroup_id_x 1
		.amdhsa_system_sgpr_workgroup_id_y 0
		.amdhsa_system_sgpr_workgroup_id_z 0
		.amdhsa_system_sgpr_workgroup_info 0
		.amdhsa_system_vgpr_workitem_id 0
		.amdhsa_next_free_vgpr 29
		.amdhsa_next_free_sgpr 64
		.amdhsa_reserve_vcc 1
		.amdhsa_reserve_flat_scratch 0
		.amdhsa_float_round_mode_32 0
		.amdhsa_float_round_mode_16_64 0
		.amdhsa_float_denorm_mode_32 3
		.amdhsa_float_denorm_mode_16_64 3
		.amdhsa_dx10_clamp 1
		.amdhsa_ieee_mode 1
		.amdhsa_fp16_overflow 0
		.amdhsa_exception_fp_ieee_invalid_op 0
		.amdhsa_exception_fp_denorm_src 0
		.amdhsa_exception_fp_ieee_div_zero 0
		.amdhsa_exception_fp_ieee_overflow 0
		.amdhsa_exception_fp_ieee_underflow 0
		.amdhsa_exception_fp_ieee_inexact 0
		.amdhsa_exception_int_div_zero 0
	.end_amdhsa_kernel
	.section	.text._ZN2at6native32elementwise_kernel_manual_unrollILi128ELi4EZNS0_22gpu_kernel_impl_nocastIZZZNS0_12_GLOBAL__N_121bessel_j1_kernel_cudaERNS_18TensorIteratorBaseEENKUlvE_clEvENKUlvE0_clEvEUlfE_EEvS5_RKT_EUlibE_EEviT1_,"axG",@progbits,_ZN2at6native32elementwise_kernel_manual_unrollILi128ELi4EZNS0_22gpu_kernel_impl_nocastIZZZNS0_12_GLOBAL__N_121bessel_j1_kernel_cudaERNS_18TensorIteratorBaseEENKUlvE_clEvENKUlvE0_clEvEUlfE_EEvS5_RKT_EUlibE_EEviT1_,comdat
.Lfunc_end16:
	.size	_ZN2at6native32elementwise_kernel_manual_unrollILi128ELi4EZNS0_22gpu_kernel_impl_nocastIZZZNS0_12_GLOBAL__N_121bessel_j1_kernel_cudaERNS_18TensorIteratorBaseEENKUlvE_clEvENKUlvE0_clEvEUlfE_EEvS5_RKT_EUlibE_EEviT1_, .Lfunc_end16-_ZN2at6native32elementwise_kernel_manual_unrollILi128ELi4EZNS0_22gpu_kernel_impl_nocastIZZZNS0_12_GLOBAL__N_121bessel_j1_kernel_cudaERNS_18TensorIteratorBaseEENKUlvE_clEvENKUlvE0_clEvEUlfE_EEvS5_RKT_EUlibE_EEviT1_
                                        ; -- End function
	.set _ZN2at6native32elementwise_kernel_manual_unrollILi128ELi4EZNS0_22gpu_kernel_impl_nocastIZZZNS0_12_GLOBAL__N_121bessel_j1_kernel_cudaERNS_18TensorIteratorBaseEENKUlvE_clEvENKUlvE0_clEvEUlfE_EEvS5_RKT_EUlibE_EEviT1_.num_vgpr, max(29, .L_ZN2at6native6invokeIZZZNS0_12_GLOBAL__N_121bessel_j1_kernel_cudaERNS_18TensorIteratorBaseEENKUlvE_clEvENKUlvE0_clEvEUlfE_j15function_traitsIS7_EEENT1_11result_typeERKT_PrKPcPKT0_i.num_vgpr)
	.set _ZN2at6native32elementwise_kernel_manual_unrollILi128ELi4EZNS0_22gpu_kernel_impl_nocastIZZZNS0_12_GLOBAL__N_121bessel_j1_kernel_cudaERNS_18TensorIteratorBaseEENKUlvE_clEvENKUlvE0_clEvEUlfE_EEvS5_RKT_EUlibE_EEviT1_.num_agpr, max(0, .L_ZN2at6native6invokeIZZZNS0_12_GLOBAL__N_121bessel_j1_kernel_cudaERNS_18TensorIteratorBaseEENKUlvE_clEvENKUlvE0_clEvEUlfE_j15function_traitsIS7_EEENT1_11result_typeERKT_PrKPcPKT0_i.num_agpr)
	.set _ZN2at6native32elementwise_kernel_manual_unrollILi128ELi4EZNS0_22gpu_kernel_impl_nocastIZZZNS0_12_GLOBAL__N_121bessel_j1_kernel_cudaERNS_18TensorIteratorBaseEENKUlvE_clEvENKUlvE0_clEvEUlfE_EEvS5_RKT_EUlibE_EEviT1_.numbered_sgpr, max(64, .L_ZN2at6native6invokeIZZZNS0_12_GLOBAL__N_121bessel_j1_kernel_cudaERNS_18TensorIteratorBaseEENKUlvE_clEvENKUlvE0_clEvEUlfE_j15function_traitsIS7_EEENT1_11result_typeERKT_PrKPcPKT0_i.numbered_sgpr)
	.set _ZN2at6native32elementwise_kernel_manual_unrollILi128ELi4EZNS0_22gpu_kernel_impl_nocastIZZZNS0_12_GLOBAL__N_121bessel_j1_kernel_cudaERNS_18TensorIteratorBaseEENKUlvE_clEvENKUlvE0_clEvEUlfE_EEvS5_RKT_EUlibE_EEviT1_.num_named_barrier, max(0, .L_ZN2at6native6invokeIZZZNS0_12_GLOBAL__N_121bessel_j1_kernel_cudaERNS_18TensorIteratorBaseEENKUlvE_clEvENKUlvE0_clEvEUlfE_j15function_traitsIS7_EEENT1_11result_typeERKT_PrKPcPKT0_i.num_named_barrier)
	.set _ZN2at6native32elementwise_kernel_manual_unrollILi128ELi4EZNS0_22gpu_kernel_impl_nocastIZZZNS0_12_GLOBAL__N_121bessel_j1_kernel_cudaERNS_18TensorIteratorBaseEENKUlvE_clEvENKUlvE0_clEvEUlfE_EEvS5_RKT_EUlibE_EEviT1_.private_seg_size, 0+max(.L_ZN2at6native6invokeIZZZNS0_12_GLOBAL__N_121bessel_j1_kernel_cudaERNS_18TensorIteratorBaseEENKUlvE_clEvENKUlvE0_clEvEUlfE_j15function_traitsIS7_EEENT1_11result_typeERKT_PrKPcPKT0_i.private_seg_size)
	.set _ZN2at6native32elementwise_kernel_manual_unrollILi128ELi4EZNS0_22gpu_kernel_impl_nocastIZZZNS0_12_GLOBAL__N_121bessel_j1_kernel_cudaERNS_18TensorIteratorBaseEENKUlvE_clEvENKUlvE0_clEvEUlfE_EEvS5_RKT_EUlibE_EEviT1_.uses_vcc, or(1, .L_ZN2at6native6invokeIZZZNS0_12_GLOBAL__N_121bessel_j1_kernel_cudaERNS_18TensorIteratorBaseEENKUlvE_clEvENKUlvE0_clEvEUlfE_j15function_traitsIS7_EEENT1_11result_typeERKT_PrKPcPKT0_i.uses_vcc)
	.set _ZN2at6native32elementwise_kernel_manual_unrollILi128ELi4EZNS0_22gpu_kernel_impl_nocastIZZZNS0_12_GLOBAL__N_121bessel_j1_kernel_cudaERNS_18TensorIteratorBaseEENKUlvE_clEvENKUlvE0_clEvEUlfE_EEvS5_RKT_EUlibE_EEviT1_.uses_flat_scratch, or(0, .L_ZN2at6native6invokeIZZZNS0_12_GLOBAL__N_121bessel_j1_kernel_cudaERNS_18TensorIteratorBaseEENKUlvE_clEvENKUlvE0_clEvEUlfE_j15function_traitsIS7_EEENT1_11result_typeERKT_PrKPcPKT0_i.uses_flat_scratch)
	.set _ZN2at6native32elementwise_kernel_manual_unrollILi128ELi4EZNS0_22gpu_kernel_impl_nocastIZZZNS0_12_GLOBAL__N_121bessel_j1_kernel_cudaERNS_18TensorIteratorBaseEENKUlvE_clEvENKUlvE0_clEvEUlfE_EEvS5_RKT_EUlibE_EEviT1_.has_dyn_sized_stack, or(0, .L_ZN2at6native6invokeIZZZNS0_12_GLOBAL__N_121bessel_j1_kernel_cudaERNS_18TensorIteratorBaseEENKUlvE_clEvENKUlvE0_clEvEUlfE_j15function_traitsIS7_EEENT1_11result_typeERKT_PrKPcPKT0_i.has_dyn_sized_stack)
	.set _ZN2at6native32elementwise_kernel_manual_unrollILi128ELi4EZNS0_22gpu_kernel_impl_nocastIZZZNS0_12_GLOBAL__N_121bessel_j1_kernel_cudaERNS_18TensorIteratorBaseEENKUlvE_clEvENKUlvE0_clEvEUlfE_EEvS5_RKT_EUlibE_EEviT1_.has_recursion, or(0, .L_ZN2at6native6invokeIZZZNS0_12_GLOBAL__N_121bessel_j1_kernel_cudaERNS_18TensorIteratorBaseEENKUlvE_clEvENKUlvE0_clEvEUlfE_j15function_traitsIS7_EEENT1_11result_typeERKT_PrKPcPKT0_i.has_recursion)
	.set _ZN2at6native32elementwise_kernel_manual_unrollILi128ELi4EZNS0_22gpu_kernel_impl_nocastIZZZNS0_12_GLOBAL__N_121bessel_j1_kernel_cudaERNS_18TensorIteratorBaseEENKUlvE_clEvENKUlvE0_clEvEUlfE_EEvS5_RKT_EUlibE_EEviT1_.has_indirect_call, or(0, .L_ZN2at6native6invokeIZZZNS0_12_GLOBAL__N_121bessel_j1_kernel_cudaERNS_18TensorIteratorBaseEENKUlvE_clEvENKUlvE0_clEvEUlfE_j15function_traitsIS7_EEENT1_11result_typeERKT_PrKPcPKT0_i.has_indirect_call)
	.section	.AMDGPU.csdata,"",@progbits
; Kernel info:
; codeLenInByte = 5820
; TotalNumSgprs: 68
; NumVgprs: 29
; ScratchSize: 0
; MemoryBound: 0
; FloatMode: 240
; IeeeMode: 1
; LDSByteSize: 0 bytes/workgroup (compile time only)
; SGPRBlocks: 8
; VGPRBlocks: 7
; NumSGPRsForWavesPerEU: 68
; NumVGPRsForWavesPerEU: 29
; Occupancy: 8
; WaveLimiterHint : 1
; COMPUTE_PGM_RSRC2:SCRATCH_EN: 0
; COMPUTE_PGM_RSRC2:USER_SGPR: 6
; COMPUTE_PGM_RSRC2:TRAP_HANDLER: 0
; COMPUTE_PGM_RSRC2:TGID_X_EN: 1
; COMPUTE_PGM_RSRC2:TGID_Y_EN: 0
; COMPUTE_PGM_RSRC2:TGID_Z_EN: 0
; COMPUTE_PGM_RSRC2:TIDIG_COMP_CNT: 0
	.text
	.p2align	2                               ; -- Begin function _ZN2at6native6invokeIZZZNS0_12_GLOBAL__N_121bessel_j1_kernel_cudaERNS_18TensorIteratorBaseEENKUlvE_clEvENKUlvE0_clEvEUlfE_i15function_traitsIS7_EEENT1_11result_typeERKT_PrKPcPKT0_PKN3c1010ScalarTypeEi
	.type	_ZN2at6native6invokeIZZZNS0_12_GLOBAL__N_121bessel_j1_kernel_cudaERNS_18TensorIteratorBaseEENKUlvE_clEvENKUlvE0_clEvEUlfE_i15function_traitsIS7_EEENT1_11result_typeERKT_PrKPcPKT0_PKN3c1010ScalarTypeEi,@function
_ZN2at6native6invokeIZZZNS0_12_GLOBAL__N_121bessel_j1_kernel_cudaERNS_18TensorIteratorBaseEENKUlvE_clEvENKUlvE0_clEvEUlfE_i15function_traitsIS7_EEENT1_11result_typeERKT_PrKPcPKT0_PKN3c1010ScalarTypeEi: ; @_ZN2at6native6invokeIZZZNS0_12_GLOBAL__N_121bessel_j1_kernel_cudaERNS_18TensorIteratorBaseEENKUlvE_clEvENKUlvE0_clEvEUlfE_i15function_traitsIS7_EEENT1_11result_typeERKT_PrKPcPKT0_PKN3c1010ScalarTypeEi
; %bb.0:
	s_waitcnt vmcnt(0) expcnt(0) lgkmcnt(0)
	v_mul_lo_u32 v2, v4, v2
	s_mov_b64 s[6:7], 0
	v_ashrrev_i32_e32 v4, 31, v2
	v_add_co_u32_e32 v0, vcc, v0, v2
	v_mov_b32_e32 v2, 10
	v_addc_co_u32_e32 v1, vcc, v1, v4, vcc
	v_cmp_gt_i16_sdwa s[4:5], v3, v2 src0_sel:BYTE_0 src1_sel:DWORD
                                        ; implicit-def: $vgpr2
	s_and_saveexec_b64 s[8:9], s[4:5]
	s_xor_b64 s[4:5], exec, s[8:9]
	s_cbranch_execz .LBB17_46
; %bb.1:
	v_mov_b32_e32 v2, 25
	v_cmp_gt_i16_sdwa s[10:11], v3, v2 src0_sel:BYTE_0 src1_sel:DWORD
	s_mov_b64 s[12:13], 0
	s_mov_b64 s[8:9], 0
                                        ; implicit-def: $vgpr2
	s_and_saveexec_b64 s[14:15], s[10:11]
	s_xor_b64 s[10:11], exec, s[14:15]
	s_cbranch_execz .LBB17_89
; %bb.2:
	v_mov_b32_e32 v2, 28
	v_cmp_gt_i16_sdwa s[8:9], v3, v2 src0_sel:BYTE_0 src1_sel:DWORD
	s_mov_b64 s[14:15], 0
                                        ; implicit-def: $vgpr2
	s_and_saveexec_b64 s[16:17], s[8:9]
	s_xor_b64 s[8:9], exec, s[16:17]
	s_cbranch_execz .LBB17_18
; %bb.3:
	v_mov_b32_e32 v2, 43
	v_cmp_gt_i16_sdwa s[12:13], v3, v2 src0_sel:BYTE_0 src1_sel:DWORD
	s_mov_b64 s[16:17], 0
	s_mov_b64 s[18:19], 0
                                        ; implicit-def: $vgpr2
	s_and_saveexec_b64 s[14:15], s[12:13]
	s_xor_b64 s[12:13], exec, s[14:15]
	s_cbranch_execz .LBB17_13
; %bb.4:
	v_mov_b32_e32 v2, 45
	v_cmp_gt_i16_sdwa s[18:19], v3, v2 src0_sel:BYTE_0 src1_sel:DWORD
	s_mov_b64 s[14:15], 0
                                        ; implicit-def: $vgpr2
	s_and_saveexec_b64 s[20:21], s[18:19]
	s_xor_b64 s[18:19], exec, s[20:21]
	s_cbranch_execz .LBB17_8
; %bb.5:
	v_mov_b32_e32 v2, 46
	v_cmp_eq_u16_sdwa s[22:23], v3, v2 src0_sel:BYTE_0 src1_sel:DWORD
	s_mov_b64 s[20:21], -1
                                        ; implicit-def: $vgpr2
	s_and_saveexec_b64 s[16:17], s[22:23]
	s_cbranch_execz .LBB17_7
; %bb.6:
	flat_load_dword v2, v[0:1]
	s_mov_b64 s[14:15], exec
	s_xor_b64 s[20:21], exec, -1
	s_waitcnt vmcnt(0) lgkmcnt(0)
	v_lshlrev_b32_e32 v2, 16, v2
.LBB17_7:
	s_or_b64 exec, exec, s[16:17]
	s_and_b64 s[16:17], s[14:15], exec
	s_and_b64 s[14:15], s[20:21], exec
                                        ; implicit-def: $vgpr3
.LBB17_8:
	s_andn2_saveexec_b64 s[18:19], s[18:19]
	s_cbranch_execz .LBB17_12
; %bb.9:
	v_mov_b32_e32 v2, 44
	v_cmp_eq_u16_sdwa s[26:27], v3, v2 src0_sel:BYTE_0 src1_sel:DWORD
	s_mov_b64 s[24:25], -1
	s_mov_b64 s[22:23], s[16:17]
                                        ; implicit-def: $vgpr2
	s_and_saveexec_b64 s[20:21], s[26:27]
	s_cbranch_execz .LBB17_11
; %bb.10:
	flat_load_ubyte v2, v[0:1]
	s_movk_i32 s24, 0xff
	v_mov_b32_e32 v3, 0x7f800001
	v_mov_b32_e32 v4, 0x400000
	s_or_b64 s[22:23], s[16:17], exec
	s_waitcnt vmcnt(0) lgkmcnt(0)
	v_lshlrev_b32_e32 v5, 23, v2
	v_cmp_ne_u32_e32 vcc, s24, v2
	v_cndmask_b32_e32 v3, v3, v5, vcc
	v_cmp_ne_u32_e32 vcc, 0, v2
	v_cndmask_b32_e32 v2, v4, v3, vcc
	s_xor_b64 s[24:25], exec, -1
.LBB17_11:
	s_or_b64 exec, exec, s[20:21]
	s_andn2_b64 s[16:17], s[16:17], exec
	s_and_b64 s[20:21], s[22:23], exec
	s_or_b64 s[16:17], s[16:17], s[20:21]
	s_andn2_b64 s[14:15], s[14:15], exec
	s_and_b64 s[20:21], s[24:25], exec
	s_or_b64 s[14:15], s[14:15], s[20:21]
.LBB17_12:
	s_or_b64 exec, exec, s[18:19]
	s_and_b64 s[18:19], s[16:17], exec
	s_and_b64 s[16:17], s[14:15], exec
                                        ; implicit-def: $vgpr3
.LBB17_13:
	s_andn2_saveexec_b64 s[12:13], s[12:13]
	s_cbranch_execz .LBB17_17
; %bb.14:
	v_mov_b32_e32 v2, 29
	v_cmp_eq_u16_sdwa s[24:25], v3, v2 src0_sel:BYTE_0 src1_sel:DWORD
	s_mov_b64 s[20:21], -1
	s_mov_b64 s[22:23], s[18:19]
                                        ; implicit-def: $vgpr2
	s_and_saveexec_b64 s[14:15], s[24:25]
	s_cbranch_execz .LBB17_16
; %bb.15:
	flat_load_dwordx2 v[2:3], v[0:1]
	s_or_b64 s[22:23], s[18:19], exec
	s_xor_b64 s[20:21], exec, -1
	s_waitcnt vmcnt(0) lgkmcnt(0)
	v_ffbh_u32_e32 v4, v3
	v_min_u32_e32 v4, 32, v4
	v_lshlrev_b64 v[2:3], v4, v[2:3]
	v_min_u32_e32 v2, 1, v2
	v_or_b32_e32 v2, v3, v2
	v_cvt_f32_u32_e32 v2, v2
	v_sub_u32_e32 v3, 32, v4
	v_ldexp_f32 v2, v2, v3
.LBB17_16:
	s_or_b64 exec, exec, s[14:15]
	s_andn2_b64 s[14:15], s[18:19], exec
	s_and_b64 s[18:19], s[22:23], exec
	s_or_b64 s[18:19], s[14:15], s[18:19]
	s_andn2_b64 s[14:15], s[16:17], exec
	s_and_b64 s[16:17], s[20:21], exec
	s_or_b64 s[16:17], s[14:15], s[16:17]
.LBB17_17:
	s_or_b64 exec, exec, s[12:13]
	s_and_b64 s[14:15], s[18:19], exec
	s_and_b64 s[12:13], s[16:17], exec
                                        ; implicit-def: $vgpr3
.LBB17_18:
	s_andn2_saveexec_b64 s[8:9], s[8:9]
	s_cbranch_execz .LBB17_34
; %bb.19:
	v_mov_b32_e32 v2, 26
	v_cmp_gt_i16_sdwa s[16:17], v3, v2 src0_sel:BYTE_0 src1_sel:DWORD
                                        ; implicit-def: $vgpr2
	s_and_saveexec_b64 s[18:19], s[16:17]
	s_xor_b64 s[16:17], exec, s[18:19]
	s_cbranch_execz .LBB17_25
; %bb.20:
	v_mov_b32_e32 v2, 27
	v_cmp_gt_i16_sdwa s[18:19], v3, v2 src0_sel:BYTE_0 src1_sel:DWORD
                                        ; implicit-def: $vgpr2
	s_and_saveexec_b64 s[20:21], s[18:19]
	s_xor_b64 s[18:19], exec, s[20:21]
	s_cbranch_execz .LBB17_22
; %bb.21:
	flat_load_dword v2, v[0:1]
	s_waitcnt vmcnt(0) lgkmcnt(0)
	v_cvt_f32_u32_e32 v2, v2
.LBB17_22:
	s_andn2_saveexec_b64 s[18:19], s[18:19]
	s_cbranch_execz .LBB17_24
; %bb.23:
	flat_load_ushort v2, v[0:1]
	s_waitcnt vmcnt(0) lgkmcnt(0)
	v_cvt_f32_u32_e32 v2, v2
.LBB17_24:
	s_or_b64 exec, exec, s[18:19]
.LBB17_25:
	s_andn2_saveexec_b64 s[16:17], s[16:17]
	s_cbranch_execz .LBB17_33
; %bb.26:
	flat_load_ubyte v3, v[0:1]
	s_movk_i32 s18, 0x7f
	s_waitcnt vmcnt(0) lgkmcnt(0)
	v_cmp_lt_i16_e32 vcc, s18, v3
	s_mov_b64 s[18:19], 0
	s_and_saveexec_b64 s[20:21], vcc
	s_xor_b64 s[20:21], exec, s[20:21]
	s_cbranch_execz .LBB17_139
; %bb.27:
	s_movk_i32 s18, 0x80
	v_cmp_eq_u16_e32 vcc, s18, v3
	s_mov_b64 s[18:19], -1
	s_and_saveexec_b64 s[22:23], vcc
; %bb.28:
	s_xor_b64 s[18:19], exec, -1
; %bb.29:
	s_or_b64 exec, exec, s[22:23]
	s_and_b64 s[18:19], s[18:19], exec
	s_or_saveexec_b64 s[20:21], s[20:21]
	v_mov_b32_e32 v2, 0x7f800001
	s_xor_b64 exec, exec, s[20:21]
	s_cbranch_execnz .LBB17_140
.LBB17_30:
	s_or_b64 exec, exec, s[20:21]
	s_and_saveexec_b64 s[20:21], s[18:19]
	s_cbranch_execz .LBB17_32
.LBB17_31:
	v_lshlrev_b32_e32 v2, 24, v3
	v_and_b32_e32 v3, 0xffff, v3
	v_and_b32_e32 v4, 7, v3
	v_ffbh_u32_e32 v6, v4
	v_min_u32_e32 v6, 32, v6
	v_subrev_u32_e32 v7, 28, v6
	v_bfe_u32 v5, v3, 3, 4
	v_lshlrev_b32_e32 v3, v7, v3
	v_sub_u32_e32 v6, 29, v6
	v_and_b32_e32 v3, 7, v3
	v_cmp_eq_u32_e32 vcc, 0, v5
	v_cndmask_b32_e32 v5, v5, v6, vcc
	v_cndmask_b32_e32 v3, v4, v3, vcc
	v_mov_b32_e32 v4, 0x3b800000
	v_lshlrev_b32_e32 v3, 20, v3
	v_and_b32_e32 v2, 0x80000000, v2
	v_lshl_add_u32 v4, v5, 23, v4
	v_or3_b32 v2, v2, v4, v3
.LBB17_32:
	s_or_b64 exec, exec, s[20:21]
.LBB17_33:
	s_or_b64 exec, exec, s[16:17]
	s_or_b64 s[14:15], s[14:15], exec
.LBB17_34:
	s_or_b64 exec, exec, s[8:9]
	s_and_b64 s[8:9], s[14:15], exec
	s_and_b64 s[12:13], s[12:13], exec
                                        ; implicit-def: $vgpr3
	s_andn2_saveexec_b64 s[10:11], s[10:11]
	s_cbranch_execnz .LBB17_90
.LBB17_35:
	s_or_b64 exec, exec, s[10:11]
	s_and_saveexec_b64 s[10:11], s[12:13]
	s_cbranch_execnz .LBB17_115
.LBB17_36:
	s_or_b64 exec, exec, s[10:11]
	s_and_saveexec_b64 s[10:11], s[6:7]
	s_xor_b64 s[6:7], exec, s[10:11]
	s_cbranch_execz .LBB17_38
.LBB17_37:
	flat_load_ubyte v0, v[0:1]
	s_or_b64 s[8:9], s[8:9], exec
	s_waitcnt vmcnt(0) lgkmcnt(0)
	v_cmp_ne_u16_e32 vcc, 0, v0
	v_cndmask_b32_e64 v2, 0, 1.0, vcc
.LBB17_38:
	s_or_b64 exec, exec, s[6:7]
	s_and_b64 s[6:7], s[8:9], exec
                                        ; implicit-def: $vgpr3
                                        ; implicit-def: $vgpr0_vgpr1
	s_andn2_saveexec_b64 s[4:5], s[4:5]
	s_cbranch_execnz .LBB17_47
.LBB17_39:
	s_or_b64 exec, exec, s[4:5]
                                        ; implicit-def: $vgpr0
	s_and_saveexec_b64 s[10:11], s[6:7]
	s_cbranch_execz .LBB17_88
.LBB17_40:
	s_waitcnt vmcnt(0) lgkmcnt(0)
	v_cmp_ngt_f32_e32 vcc, 0, v2
                                        ; implicit-def: $vgpr0
	s_and_saveexec_b64 s[4:5], vcc
	s_xor_b64 s[12:13], exec, s[4:5]
	s_cbranch_execz .LBB17_124
; %bb.41:
	s_mov_b32 s4, 0x40a00000
	v_cmp_ge_f32_e32 vcc, s4, v2
                                        ; implicit-def: $vgpr0
	s_and_saveexec_b64 s[4:5], vcc
	s_xor_b64 s[4:5], exec, s[4:5]
	s_cbranch_execz .LBB17_43
; %bb.42:
	v_mul_f32_e32 v0, v2, v2
	v_mov_b32_e32 v1, 0xce5691e2
	v_fmac_f32_e32 v1, 0, v0
	v_mov_b32_e32 v3, 0x52d295d0
	v_fmac_f32_e32 v3, v0, v1
	;; [unrolled: 2-line block ×12, first 2 shown]
	v_div_scale_f32 v0, s[6:7], v4, v4, v3
	v_div_scale_f32 v1, vcc, v3, v4, v3
	v_rcp_f32_e32 v5, v0
	v_fma_f32 v6, -v0, v5, 1.0
	v_fmac_f32_e32 v5, v6, v5
	v_mul_f32_e32 v6, v1, v5
	v_fma_f32 v7, -v0, v6, v1
	v_fmac_f32_e32 v6, v7, v5
	v_fma_f32 v0, -v0, v6, v1
	v_div_fmas_f32 v0, v0, v5, v6
	v_mov_b32_e32 v1, 0xc16ae95a
	v_mov_b32_e32 v5, 0xc244dfb3
	v_fmac_f32_e32 v1, v2, v2
	v_fmac_f32_e32 v5, v2, v2
	v_div_fixup_f32 v0, v0, v4, v3
	v_mul_f32_e32 v0, v2, v0
	v_mul_f32_e32 v0, v1, v0
	;; [unrolled: 1-line block ×3, first 2 shown]
                                        ; implicit-def: $vgpr2
.LBB17_43:
	s_andn2_saveexec_b64 s[14:15], s[4:5]
	s_cbranch_execz .LBB17_123
; %bb.44:
	v_add_f32_e32 v0, 0xc016cbe4, v2
	v_and_b32_e32 v1, 0x7fffffff, v0
	s_brev_b32 s4, 18
	v_cmp_nlt_f32_e64 s[16:17], |v0|, s4
	v_lshrrev_b32_e32 v7, 23, v1
                                        ; implicit-def: $vgpr3
                                        ; implicit-def: $vgpr4
	s_and_saveexec_b64 s[4:5], s[16:17]
	s_xor_b64 s[18:19], exec, s[4:5]
	s_cbranch_execz .LBB17_116
; %bb.45:
	v_and_b32_e32 v3, 0x7fffff, v1
	v_or_b32_e32 v6, 0x800000, v3
	s_mov_b32 s4, 0xfe5163ab
	v_mad_u64_u32 v[3:4], s[4:5], v6, s4, 0
	v_mov_b32_e32 v5, 0
	s_mov_b32 s4, 0x3c439041
	v_mad_u64_u32 v[8:9], s[4:5], v6, s4, v[4:5]
	s_mov_b32 s4, 0xdb629599
	v_add_u32_e32 v13, 0xffffff88, v7
	v_mov_b32_e32 v4, v9
	v_mad_u64_u32 v[9:10], s[4:5], v6, s4, v[4:5]
	s_mov_b32 s4, 0xf534ddc0
	v_not_b32_e32 v14, 63
	v_mov_b32_e32 v4, v10
	v_mad_u64_u32 v[10:11], s[4:5], v6, s4, v[4:5]
	s_mov_b32 s4, 0xfc2757d1
	v_cmp_lt_u32_e32 vcc, 63, v13
	v_mov_b32_e32 v4, v11
	v_mad_u64_u32 v[11:12], s[4:5], v6, s4, v[4:5]
	v_cndmask_b32_e32 v4, 0, v14, vcc
	v_add_u32_e32 v14, v4, v13
	v_mov_b32_e32 v4, v12
	s_mov_b32 s4, 0x4e441529
	v_mad_u64_u32 v[12:13], s[4:5], v6, s4, v[4:5]
	v_not_b32_e32 v15, 31
	v_cmp_lt_u32_e64 s[4:5], 31, v14
	v_cndmask_b32_e64 v4, 0, v15, s[4:5]
	v_add_u32_e32 v14, v4, v14
	v_mov_b32_e32 v4, v13
	s_mov_b32 s6, 0xa2f9836e
	v_mad_u64_u32 v[4:5], s[6:7], v6, s6, v[4:5]
	v_cmp_lt_u32_e64 s[6:7], 31, v14
	v_cndmask_b32_e64 v6, 0, v15, s[6:7]
	v_cndmask_b32_e32 v13, v12, v10, vcc
	v_cndmask_b32_e32 v4, v4, v11, vcc
	;; [unrolled: 1-line block ×3, first 2 shown]
	v_add_u32_e32 v6, v6, v14
	v_cndmask_b32_e64 v14, v4, v13, s[4:5]
	v_cndmask_b32_e64 v4, v5, v4, s[4:5]
	v_cndmask_b32_e32 v5, v11, v9, vcc
	v_cndmask_b32_e64 v11, v13, v5, s[4:5]
	v_cndmask_b32_e64 v4, v4, v14, s[6:7]
	;; [unrolled: 1-line block ×3, first 2 shown]
	v_sub_u32_e32 v13, 32, v6
	v_alignbit_b32 v14, v4, v12, v13
	v_cmp_eq_u32_e64 s[8:9], 0, v6
	v_cndmask_b32_e64 v6, v14, v4, s[8:9]
	v_cndmask_b32_e32 v4, v10, v8, vcc
	v_cndmask_b32_e64 v5, v5, v4, s[4:5]
	v_cndmask_b32_e64 v8, v11, v5, s[6:7]
	v_alignbit_b32 v10, v12, v8, v13
	v_cndmask_b32_e32 v3, v9, v3, vcc
	v_cndmask_b32_e64 v10, v10, v12, s[8:9]
	v_bfe_u32 v14, v6, 29, 1
	v_cndmask_b32_e64 v3, v4, v3, s[4:5]
	v_alignbit_b32 v11, v6, v10, 30
	v_sub_u32_e32 v15, 0, v14
	v_cndmask_b32_e64 v3, v5, v3, s[6:7]
	v_xor_b32_e32 v11, v11, v15
	v_alignbit_b32 v4, v8, v3, v13
	v_cndmask_b32_e64 v4, v4, v8, s[8:9]
	v_ffbh_u32_e32 v8, v11
	v_alignbit_b32 v5, v10, v4, 30
	v_min_u32_e32 v8, 32, v8
	v_alignbit_b32 v3, v4, v3, 30
	v_xor_b32_e32 v5, v5, v15
	v_sub_u32_e32 v9, 31, v8
	v_xor_b32_e32 v3, v3, v15
	v_alignbit_b32 v10, v11, v5, v9
	v_alignbit_b32 v3, v5, v3, v9
	v_alignbit_b32 v4, v10, v3, 9
	v_ffbh_u32_e32 v5, v4
	v_min_u32_e32 v5, 32, v5
	v_lshrrev_b32_e32 v12, 29, v6
	v_not_b32_e32 v9, v5
	v_alignbit_b32 v3, v4, v3, v9
	v_lshlrev_b32_e32 v4, 31, v12
	v_or_b32_e32 v9, 0x33000000, v4
	v_add_lshl_u32 v5, v5, v8, 23
	v_lshrrev_b32_e32 v3, 9, v3
	v_sub_u32_e32 v5, v9, v5
	v_or_b32_e32 v4, 0.5, v4
	v_lshlrev_b32_e32 v8, 23, v8
	v_or_b32_e32 v3, v5, v3
	v_lshrrev_b32_e32 v5, 9, v10
	v_sub_u32_e32 v4, v4, v8
	v_or_b32_e32 v4, v5, v4
	s_mov_b32 s4, 0x3fc90fda
	v_mul_f32_e32 v5, 0x3fc90fda, v4
	v_fma_f32 v8, v4, s4, -v5
	v_fmac_f32_e32 v8, 0x33a22168, v4
	v_fmac_f32_e32 v8, 0x3fc90fda, v3
	v_lshrrev_b32_e32 v3, 30, v6
	v_add_f32_e32 v4, v5, v8
	v_add_u32_e32 v3, v14, v3
	s_andn2_saveexec_b64 s[4:5], s[18:19]
	s_cbranch_execz .LBB17_118
	s_branch .LBB17_117
.LBB17_46:
	s_andn2_saveexec_b64 s[4:5], s[4:5]
	s_cbranch_execz .LBB17_39
.LBB17_47:
	v_mov_b32_e32 v2, 4
	v_cmp_gt_i16_sdwa s[8:9], v3, v2 src0_sel:BYTE_0 src1_sel:DWORD
                                        ; implicit-def: $vgpr2
	s_and_saveexec_b64 s[10:11], s[8:9]
	s_xor_b64 s[8:9], exec, s[10:11]
	s_cbranch_execz .LBB17_69
; %bb.48:
	v_mov_b32_e32 v2, 7
	v_cmp_gt_i16_sdwa s[10:11], v3, v2 src0_sel:BYTE_0 src1_sel:DWORD
                                        ; implicit-def: $vgpr2
	s_and_saveexec_b64 s[12:13], s[10:11]
	s_xor_b64 s[10:11], exec, s[12:13]
	s_cbranch_execz .LBB17_58
; %bb.49:
	;; [unrolled: 7-line block ×4, first 2 shown]
	flat_load_dwordx2 v[0:1], v[0:1]
	s_waitcnt vmcnt(0) lgkmcnt(0)
	v_cvt_f32_f64_e32 v2, v[0:1]
                                        ; implicit-def: $vgpr0_vgpr1
.LBB17_52:
	s_andn2_saveexec_b64 s[14:15], s[14:15]
	s_cbranch_execz .LBB17_54
; %bb.53:
	flat_load_dword v2, v[0:1]
.LBB17_54:
	s_or_b64 exec, exec, s[14:15]
                                        ; implicit-def: $vgpr0_vgpr1
.LBB17_55:
	s_andn2_saveexec_b64 s[12:13], s[12:13]
	s_cbranch_execz .LBB17_57
; %bb.56:
	flat_load_dword v0, v[0:1]
	s_waitcnt vmcnt(0) lgkmcnt(0)
	v_cvt_f32_f16_e32 v2, v0
.LBB17_57:
	s_or_b64 exec, exec, s[12:13]
                                        ; implicit-def: $vgpr0_vgpr1
                                        ; implicit-def: $vgpr3
.LBB17_58:
	s_andn2_saveexec_b64 s[10:11], s[10:11]
	s_cbranch_execz .LBB17_68
; %bb.59:
	s_waitcnt vmcnt(0) lgkmcnt(0)
	v_mov_b32_e32 v2, 5
	v_cmp_gt_i16_sdwa s[12:13], v3, v2 src0_sel:BYTE_0 src1_sel:DWORD
                                        ; implicit-def: $vgpr2
	s_and_saveexec_b64 s[14:15], s[12:13]
	s_xor_b64 s[12:13], exec, s[14:15]
	s_cbranch_execz .LBB17_65
; %bb.60:
	v_mov_b32_e32 v2, 6
	v_cmp_gt_i16_sdwa s[14:15], v3, v2 src0_sel:BYTE_0 src1_sel:DWORD
                                        ; implicit-def: $vgpr2
	s_and_saveexec_b64 s[16:17], s[14:15]
	s_xor_b64 s[14:15], exec, s[16:17]
	s_cbranch_execz .LBB17_62
; %bb.61:
	flat_load_dwordx2 v[0:1], v[0:1]
	s_waitcnt vmcnt(0) lgkmcnt(0)
	v_cvt_f32_f64_e32 v2, v[0:1]
                                        ; implicit-def: $vgpr0_vgpr1
.LBB17_62:
	s_andn2_saveexec_b64 s[14:15], s[14:15]
	s_cbranch_execz .LBB17_64
; %bb.63:
	flat_load_dword v2, v[0:1]
.LBB17_64:
	s_or_b64 exec, exec, s[14:15]
                                        ; implicit-def: $vgpr0_vgpr1
.LBB17_65:
	s_andn2_saveexec_b64 s[12:13], s[12:13]
	s_cbranch_execz .LBB17_67
; %bb.66:
	flat_load_ushort v0, v[0:1]
	s_waitcnt vmcnt(0) lgkmcnt(0)
	v_cvt_f32_f16_e32 v2, v0
.LBB17_67:
	s_or_b64 exec, exec, s[12:13]
.LBB17_68:
	s_or_b64 exec, exec, s[10:11]
                                        ; implicit-def: $vgpr3
                                        ; implicit-def: $vgpr0_vgpr1
.LBB17_69:
	s_andn2_saveexec_b64 s[8:9], s[8:9]
	s_cbranch_execz .LBB17_87
; %bb.70:
	s_waitcnt vmcnt(0) lgkmcnt(0)
	v_mov_b32_e32 v2, 1
	v_cmp_gt_i16_sdwa s[10:11], v3, v2 src0_sel:BYTE_0 src1_sel:DWORD
                                        ; implicit-def: $vgpr2
	s_and_saveexec_b64 s[12:13], s[10:11]
	s_xor_b64 s[10:11], exec, s[12:13]
	s_cbranch_execz .LBB17_80
; %bb.71:
	v_mov_b32_e32 v2, 2
	v_cmp_gt_i16_sdwa s[12:13], v3, v2 src0_sel:BYTE_0 src1_sel:DWORD
                                        ; implicit-def: $vgpr2
	s_and_saveexec_b64 s[14:15], s[12:13]
	s_xor_b64 s[12:13], exec, s[14:15]
	s_cbranch_execz .LBB17_77
; %bb.72:
	;; [unrolled: 7-line block ×3, first 2 shown]
	flat_load_dwordx2 v[0:1], v[0:1]
	s_waitcnt vmcnt(0) lgkmcnt(0)
	v_xor_b32_e32 v3, v0, v1
	v_ffbh_i32_e32 v2, v1
	v_ashrrev_i32_e32 v3, 31, v3
	v_add_u32_e32 v2, -1, v2
	v_add_u32_e32 v3, 32, v3
	v_min_u32_e32 v2, v2, v3
	v_lshlrev_b64 v[0:1], v2, v[0:1]
	v_min_u32_e32 v0, 1, v0
	v_or_b32_e32 v0, v1, v0
	v_cvt_f32_i32_e32 v0, v0
	v_sub_u32_e32 v1, 32, v2
	v_ldexp_f32 v2, v0, v1
                                        ; implicit-def: $vgpr0_vgpr1
.LBB17_74:
	s_andn2_saveexec_b64 s[14:15], s[14:15]
	s_cbranch_execz .LBB17_76
; %bb.75:
	flat_load_dword v0, v[0:1]
	s_waitcnt vmcnt(0) lgkmcnt(0)
	v_cvt_f32_i32_e32 v2, v0
.LBB17_76:
	s_or_b64 exec, exec, s[14:15]
                                        ; implicit-def: $vgpr0_vgpr1
.LBB17_77:
	s_andn2_saveexec_b64 s[12:13], s[12:13]
	s_cbranch_execz .LBB17_79
; %bb.78:
	flat_load_sshort v0, v[0:1]
	s_waitcnt vmcnt(0) lgkmcnt(0)
	v_cvt_f32_i32_e32 v2, v0
.LBB17_79:
	s_or_b64 exec, exec, s[12:13]
                                        ; implicit-def: $vgpr0_vgpr1
                                        ; implicit-def: $vgpr3
.LBB17_80:
	s_andn2_saveexec_b64 s[10:11], s[10:11]
	s_cbranch_execz .LBB17_86
; %bb.81:
	v_mov_b32_e32 v2, 0
	v_cmp_gt_i16_sdwa s[12:13], v3, v2 src0_sel:BYTE_0 src1_sel:DWORD
                                        ; implicit-def: $vgpr2
	s_and_saveexec_b64 s[14:15], s[12:13]
	s_xor_b64 s[12:13], exec, s[14:15]
	s_cbranch_execz .LBB17_83
; %bb.82:
	flat_load_sbyte v0, v[0:1]
	s_waitcnt vmcnt(0) lgkmcnt(0)
	v_cvt_f32_i32_e32 v2, v0
                                        ; implicit-def: $vgpr0_vgpr1
.LBB17_83:
	s_andn2_saveexec_b64 s[12:13], s[12:13]
	s_cbranch_execz .LBB17_85
; %bb.84:
	flat_load_ubyte v0, v[0:1]
	s_waitcnt vmcnt(0) lgkmcnt(0)
	v_cvt_f32_ubyte0_e32 v2, v0
.LBB17_85:
	s_or_b64 exec, exec, s[12:13]
.LBB17_86:
	s_or_b64 exec, exec, s[10:11]
.LBB17_87:
	s_or_b64 exec, exec, s[8:9]
	s_or_b64 s[6:7], s[6:7], exec
	s_or_b64 exec, exec, s[4:5]
                                        ; implicit-def: $vgpr0
	s_and_saveexec_b64 s[10:11], s[6:7]
	s_cbranch_execnz .LBB17_40
.LBB17_88:
	s_or_b64 exec, exec, s[10:11]
	s_waitcnt vmcnt(0) lgkmcnt(0)
	s_setpc_b64 s[30:31]
.LBB17_89:
	s_andn2_saveexec_b64 s[10:11], s[10:11]
	s_cbranch_execz .LBB17_35
.LBB17_90:
	v_mov_b32_e32 v2, 22
	v_cmp_gt_i16_sdwa s[6:7], v3, v2 src0_sel:BYTE_0 src1_sel:DWORD
	s_mov_b64 s[14:15], s[8:9]
                                        ; implicit-def: $vgpr2
	s_and_saveexec_b64 s[16:17], s[6:7]
	s_xor_b64 s[6:7], exec, s[16:17]
	s_cbranch_execz .LBB17_106
; %bb.91:
	v_mov_b32_e32 v2, 23
	v_cmp_gt_i16_sdwa s[14:15], v3, v2 src0_sel:BYTE_0 src1_sel:DWORD
                                        ; implicit-def: $vgpr2
	s_and_saveexec_b64 s[16:17], s[14:15]
	s_xor_b64 s[14:15], exec, s[16:17]
	s_cbranch_execz .LBB17_103
; %bb.92:
	v_mov_b32_e32 v2, 24
	v_cmp_gt_i16_sdwa s[16:17], v3, v2 src0_sel:BYTE_0 src1_sel:DWORD
                                        ; implicit-def: $vgpr2
	s_and_saveexec_b64 s[18:19], s[16:17]
	s_xor_b64 s[16:17], exec, s[18:19]
	s_cbranch_execz .LBB17_100
; %bb.93:
	flat_load_ubyte v3, v[0:1]
	s_movk_i32 s18, 0x7f
	s_waitcnt vmcnt(0) lgkmcnt(0)
	v_cmp_lt_i16_e32 vcc, s18, v3
	s_mov_b64 s[18:19], 0
	s_and_saveexec_b64 s[20:21], vcc
	s_xor_b64 s[20:21], exec, s[20:21]
	s_cbranch_execz .LBB17_141
; %bb.94:
	s_movk_i32 s18, 0x80
	v_cmp_eq_u16_e32 vcc, s18, v3
	s_mov_b64 s[18:19], -1
	s_and_saveexec_b64 s[22:23], vcc
; %bb.95:
	s_xor_b64 s[18:19], exec, -1
; %bb.96:
	s_or_b64 exec, exec, s[22:23]
	s_and_b64 s[18:19], s[18:19], exec
	s_or_saveexec_b64 s[20:21], s[20:21]
	v_mov_b32_e32 v2, 0x7f800001
	s_xor_b64 exec, exec, s[20:21]
	s_cbranch_execnz .LBB17_142
.LBB17_97:
	s_or_b64 exec, exec, s[20:21]
	s_and_saveexec_b64 s[20:21], s[18:19]
	s_cbranch_execz .LBB17_99
.LBB17_98:
	v_lshlrev_b32_e32 v2, 24, v3
	v_and_b32_e32 v3, 0xffff, v3
	v_and_b32_e32 v4, 3, v3
	v_ffbh_u32_e32 v6, v4
	v_min_u32_e32 v6, 32, v6
	v_subrev_u32_e32 v7, 29, v6
	v_bfe_u32 v5, v3, 2, 5
	v_lshlrev_b32_e32 v3, v7, v3
	v_sub_u32_e32 v6, 30, v6
	v_and_b32_e32 v3, 3, v3
	v_cmp_eq_u32_e32 vcc, 0, v5
	v_cndmask_b32_e32 v5, v5, v6, vcc
	v_cndmask_b32_e32 v3, v4, v3, vcc
	v_mov_b32_e32 v4, 0x37800000
	v_lshlrev_b32_e32 v3, 21, v3
	v_and_b32_e32 v2, 0x80000000, v2
	v_lshl_add_u32 v4, v5, 23, v4
	v_or3_b32 v2, v2, v4, v3
.LBB17_99:
	s_or_b64 exec, exec, s[20:21]
.LBB17_100:
	s_andn2_saveexec_b64 s[16:17], s[16:17]
	s_cbranch_execz .LBB17_102
; %bb.101:
	flat_load_ubyte v2, v[0:1]
	s_mov_b32 s18, 0x7f800000
	s_waitcnt vmcnt(0) lgkmcnt(0)
	v_lshlrev_b32_e32 v2, 24, v2
	v_and_b32_e32 v3, 0x7f000000, v2
	v_ffbh_u32_e32 v4, v3
	v_min_u32_e32 v4, 32, v4
	v_sub_u32_e64 v4, v4, 4 clamp
	v_lshlrev_b32_e32 v6, v4, v3
	v_lshlrev_b32_e32 v4, 23, v4
	v_lshrrev_b32_e32 v6, 4, v6
	v_add_u32_e32 v5, 0x1000000, v3
	v_sub_u32_e32 v4, v6, v4
	v_ashrrev_i32_e32 v5, 8, v5
	v_add_u32_e32 v4, 0x3c000000, v4
	v_and_or_b32 v4, v5, s18, v4
	v_cmp_ne_u32_e32 vcc, 0, v3
	v_cndmask_b32_e32 v3, 0, v4, vcc
	s_brev_b32 s18, 1
	v_and_or_b32 v2, v2, s18, v3
.LBB17_102:
	s_or_b64 exec, exec, s[16:17]
.LBB17_103:
	s_andn2_saveexec_b64 s[14:15], s[14:15]
	s_cbranch_execz .LBB17_105
; %bb.104:
	flat_load_ubyte v2, v[0:1]
	s_movk_i32 s16, 0x7f00
	s_brev_b32 s17, 16
	s_waitcnt vmcnt(0) lgkmcnt(0)
	v_lshlrev_b16_e32 v3, 8, v2
	v_lshlrev_b32_e32 v2, 25, v2
	v_lshrrev_b32_e32 v4, 4, v2
	v_and_or_b32 v5, v3, s16, 0.5
	v_or_b32_e32 v4, 0x70000000, v4
	v_add_f32_e32 v5, -0.5, v5
	v_mul_f32_e32 v4, 0x7800000, v4
	v_cmp_gt_u32_e32 vcc, s17, v2
	v_bfe_i32 v3, v3, 0, 16
	v_cndmask_b32_e32 v2, v4, v5, vcc
	s_brev_b32 s16, 1
	v_and_or_b32 v2, v3, s16, v2
.LBB17_105:
	s_or_b64 exec, exec, s[14:15]
	s_or_b64 s[14:15], s[8:9], exec
                                        ; implicit-def: $vgpr3
.LBB17_106:
	s_or_saveexec_b64 s[6:7], s[6:7]
	s_mov_b64 s[18:19], 0
	s_mov_b64 s[16:17], s[12:13]
	s_xor_b64 exec, exec, s[6:7]
	s_cbranch_execz .LBB17_114
; %bb.107:
	v_mov_b32_e32 v2, 14
	v_cmp_gt_i16_sdwa s[20:21], v3, v2 src0_sel:BYTE_0 src1_sel:DWORD
	s_mov_b64 s[16:17], s[12:13]
	s_mov_b64 s[18:19], s[14:15]
                                        ; implicit-def: $vgpr2
	s_and_saveexec_b64 s[22:23], s[20:21]
	s_xor_b64 s[20:21], exec, s[22:23]
	s_cbranch_execz .LBB17_111
; %bb.108:
	v_mov_b32_e32 v2, 15
	v_cmp_eq_u16_sdwa s[24:25], v3, v2 src0_sel:BYTE_0 src1_sel:DWORD
	s_mov_b64 s[16:17], -1
	s_mov_b64 s[18:19], s[14:15]
                                        ; implicit-def: $vgpr2
	s_and_saveexec_b64 s[22:23], s[24:25]
	s_cbranch_execz .LBB17_110
; %bb.109:
	flat_load_ushort v2, v[0:1]
	s_or_b64 s[18:19], s[14:15], exec
	s_xor_b64 s[16:17], exec, -1
	s_waitcnt vmcnt(0) lgkmcnt(0)
	v_lshlrev_b32_e32 v2, 16, v2
.LBB17_110:
	s_or_b64 exec, exec, s[22:23]
	s_andn2_b64 s[22:23], s[14:15], exec
	s_and_b64 s[18:19], s[18:19], exec
	s_or_b64 s[18:19], s[22:23], s[18:19]
	s_andn2_b64 s[22:23], s[12:13], exec
	s_and_b64 s[16:17], s[16:17], exec
	s_or_b64 s[16:17], s[22:23], s[16:17]
                                        ; implicit-def: $vgpr3
.LBB17_111:
	s_or_saveexec_b64 s[20:21], s[20:21]
	s_mov_b64 s[22:23], 0
	s_xor_b64 exec, exec, s[20:21]
; %bb.112:
	v_mov_b32_e32 v4, 11
	v_cmp_ne_u16_sdwa s[24:25], v3, v4 src0_sel:BYTE_0 src1_sel:DWORD
	s_andn2_b64 s[16:17], s[16:17], exec
	s_and_b64 s[24:25], s[24:25], exec
	s_mov_b64 s[22:23], exec
	s_or_b64 s[16:17], s[16:17], s[24:25]
; %bb.113:
	s_or_b64 exec, exec, s[20:21]
	s_andn2_b64 s[14:15], s[14:15], exec
	s_and_b64 s[18:19], s[18:19], exec
	s_andn2_b64 s[20:21], s[12:13], exec
	s_and_b64 s[16:17], s[16:17], exec
	s_or_b64 s[14:15], s[14:15], s[18:19]
	s_and_b64 s[18:19], s[22:23], exec
	s_or_b64 s[16:17], s[20:21], s[16:17]
.LBB17_114:
	s_or_b64 exec, exec, s[6:7]
	s_andn2_b64 s[6:7], s[8:9], exec
	s_and_b64 s[8:9], s[14:15], exec
	s_andn2_b64 s[12:13], s[12:13], exec
	s_and_b64 s[14:15], s[16:17], exec
	s_or_b64 s[8:9], s[6:7], s[8:9]
	s_and_b64 s[6:7], s[18:19], exec
	s_or_b64 s[12:13], s[12:13], s[14:15]
	s_or_b64 exec, exec, s[10:11]
	s_and_saveexec_b64 s[10:11], s[12:13]
	s_cbranch_execz .LBB17_36
.LBB17_115:
	s_trap 2
	; divergent unreachable
	s_andn2_b64 s[6:7], s[6:7], exec
	s_or_b64 exec, exec, s[10:11]
	s_and_saveexec_b64 s[10:11], s[6:7]
	s_xor_b64 s[6:7], exec, s[10:11]
	s_cbranch_execnz .LBB17_37
	s_branch .LBB17_38
.LBB17_116:
	s_andn2_saveexec_b64 s[4:5], s[18:19]
	s_cbranch_execz .LBB17_118
.LBB17_117:
	s_mov_b32 s6, 0x3f22f983
	v_mul_f32_e64 v3, |v0|, s6
	v_rndne_f32_e32 v5, v3
	s_mov_b32 s6, 0xbfc90fda
	v_cvt_i32_f32_e32 v3, v5
	v_fma_f32 v4, v5, s6, |v0|
	v_fmac_f32_e32 v4, 0xb3a22168, v5
	v_fmac_f32_e32 v4, 0xa7c234c4, v5
.LBB17_118:
	s_or_b64 exec, exec, s[4:5]
                                        ; implicit-def: $vgpr5
                                        ; implicit-def: $vgpr6
	s_and_saveexec_b64 s[4:5], s[16:17]
	s_xor_b64 s[16:17], exec, s[4:5]
	s_cbranch_execz .LBB17_120
; %bb.119:
	v_and_b32_e32 v5, 0x7fffff, v1
	v_or_b32_e32 v14, 0x800000, v5
	s_mov_b32 s4, 0xfe5163ab
	v_mad_u64_u32 v[5:6], s[4:5], v14, s4, 0
	v_mov_b32_e32 v9, 0
	s_mov_b32 s4, 0x3c439041
	v_mov_b32_e32 v8, v6
	v_mad_u64_u32 v[10:11], s[4:5], v14, s4, v[8:9]
	s_mov_b32 s4, 0xdb629599
	v_add_u32_e32 v15, 0xffffff88, v7
	v_mov_b32_e32 v8, v11
	v_mad_u64_u32 v[11:12], s[4:5], v14, s4, v[8:9]
	s_mov_b32 s4, 0xf534ddc0
	v_not_b32_e32 v16, 63
	v_mov_b32_e32 v8, v12
	v_mad_u64_u32 v[12:13], s[4:5], v14, s4, v[8:9]
	s_mov_b32 s4, 0xfc2757d1
	v_cmp_lt_u32_e32 vcc, 63, v15
	v_mov_b32_e32 v8, v13
	v_mad_u64_u32 v[6:7], s[4:5], v14, s4, v[8:9]
	v_cndmask_b32_e32 v8, 0, v16, vcc
	v_add_u32_e32 v13, v8, v15
	v_mov_b32_e32 v8, v7
	s_mov_b32 s4, 0x4e441529
	v_mad_u64_u32 v[7:8], s[4:5], v14, s4, v[8:9]
	v_not_b32_e32 v15, 31
	v_cmp_lt_u32_e64 s[4:5], 31, v13
	s_mov_b32 s6, 0xa2f9836e
	v_cndmask_b32_e64 v16, 0, v15, s[4:5]
	v_mad_u64_u32 v[8:9], s[6:7], v14, s6, v[8:9]
	v_add_u32_e32 v13, v16, v13
	v_cmp_lt_u32_e64 s[6:7], 31, v13
	v_cndmask_b32_e64 v14, 0, v15, s[6:7]
	v_add_u32_e32 v13, v14, v13
	v_cndmask_b32_e32 v14, v7, v12, vcc
	v_cndmask_b32_e32 v8, v8, v6, vcc
	;; [unrolled: 1-line block ×4, first 2 shown]
	v_cndmask_b32_e64 v15, v8, v14, s[4:5]
	v_cndmask_b32_e64 v7, v7, v8, s[4:5]
	;; [unrolled: 1-line block ×3, first 2 shown]
	v_cndmask_b32_e32 v10, v12, v10, vcc
	v_cndmask_b32_e64 v7, v7, v15, s[6:7]
	v_cndmask_b32_e64 v9, v15, v8, s[6:7]
	v_sub_u32_e32 v14, 32, v13
	v_cndmask_b32_e64 v6, v6, v10, s[4:5]
	v_alignbit_b32 v15, v7, v9, v14
	v_cmp_eq_u32_e64 s[8:9], 0, v13
	v_cndmask_b32_e64 v8, v8, v6, s[6:7]
	v_cndmask_b32_e32 v5, v11, v5, vcc
	v_cndmask_b32_e64 v7, v15, v7, s[8:9]
	v_alignbit_b32 v12, v9, v8, v14
	v_cndmask_b32_e64 v5, v10, v5, s[4:5]
	v_cndmask_b32_e64 v9, v12, v9, s[8:9]
	v_bfe_u32 v15, v7, 29, 1
	v_cndmask_b32_e64 v5, v6, v5, s[6:7]
	v_alignbit_b32 v12, v7, v9, 30
	v_sub_u32_e32 v16, 0, v15
	v_alignbit_b32 v6, v8, v5, v14
	v_xor_b32_e32 v12, v12, v16
	v_cndmask_b32_e64 v6, v6, v8, s[8:9]
	v_alignbit_b32 v8, v9, v6, 30
	v_ffbh_u32_e32 v9, v12
	v_min_u32_e32 v9, 32, v9
	v_alignbit_b32 v5, v6, v5, 30
	v_xor_b32_e32 v8, v8, v16
	v_sub_u32_e32 v10, 31, v9
	v_xor_b32_e32 v5, v5, v16
	v_alignbit_b32 v11, v12, v8, v10
	v_alignbit_b32 v5, v8, v5, v10
	;; [unrolled: 1-line block ×3, first 2 shown]
	v_ffbh_u32_e32 v8, v6
	v_min_u32_e32 v8, 32, v8
	v_lshrrev_b32_e32 v13, 29, v7
	v_not_b32_e32 v10, v8
	v_alignbit_b32 v5, v6, v5, v10
	v_lshlrev_b32_e32 v6, 31, v13
	v_or_b32_e32 v10, 0x33000000, v6
	v_add_lshl_u32 v8, v8, v9, 23
	v_lshrrev_b32_e32 v5, 9, v5
	v_sub_u32_e32 v8, v10, v8
	v_or_b32_e32 v6, 0.5, v6
	v_lshlrev_b32_e32 v9, 23, v9
	v_or_b32_e32 v5, v8, v5
	v_lshrrev_b32_e32 v8, 9, v11
	v_sub_u32_e32 v6, v6, v9
	v_or_b32_e32 v6, v8, v6
	s_mov_b32 s4, 0x3fc90fda
	v_mul_f32_e32 v8, 0x3fc90fda, v6
	v_fma_f32 v9, v6, s4, -v8
	v_fmac_f32_e32 v9, 0x33a22168, v6
	v_fmac_f32_e32 v9, 0x3fc90fda, v5
	v_lshrrev_b32_e32 v5, 30, v7
	v_add_f32_e32 v6, v8, v9
	v_add_u32_e32 v5, v15, v5
	s_andn2_saveexec_b64 s[4:5], s[16:17]
	s_cbranch_execnz .LBB17_121
	s_branch .LBB17_122
.LBB17_120:
	s_andn2_saveexec_b64 s[4:5], s[16:17]
	s_cbranch_execz .LBB17_122
.LBB17_121:
	s_mov_b32 s6, 0x3f22f983
	v_mul_f32_e64 v5, |v0|, s6
	v_rndne_f32_e32 v7, v5
	s_mov_b32 s6, 0xbfc90fda
	v_cvt_i32_f32_e32 v5, v7
	v_fma_f32 v6, v7, s6, |v0|
	v_fmac_f32_e32 v6, 0xb3a22168, v7
	v_fmac_f32_e32 v6, 0xa7c234c4, v7
.LBB17_122:
	s_or_b64 exec, exec, s[4:5]
	s_mov_b32 s6, 0x40a00000
	v_div_scale_f32 v7, s[4:5], v2, v2, s6
	v_div_scale_f32 v8, vcc, s6, v2, s6
	v_mov_b32_e32 v14, 0x3a15c4d9
	v_mov_b32_e32 v15, 0x3d8cfeeb
	;; [unrolled: 1-line block ×7, first 2 shown]
	v_rcp_f32_e32 v9, v7
	v_fma_f32 v10, -v7, v9, 1.0
	v_fmac_f32_e32 v9, v10, v9
	v_mul_f32_e32 v10, v8, v9
	v_fma_f32 v11, -v7, v10, v8
	v_fmac_f32_e32 v10, v11, v9
	v_fma_f32 v7, -v7, v10, v8
	v_div_fmas_f32 v7, v7, v9, v10
	v_mov_b32_e32 v8, 0x3a47c962
	v_mov_b32_e32 v9, 0x3d95ca45
	;; [unrolled: 1-line block ×4, first 2 shown]
	v_div_fixup_f32 v7, v7, v2, s6
	v_mul_f32_e32 v19, v7, v7
	v_fmac_f32_e32 v8, 0, v19
	v_fmac_f32_e32 v9, v19, v8
	v_mov_b32_e32 v8, 0x3d513fd3
	v_fmac_f32_e32 v14, 0, v19
	v_fmac_f32_e32 v15, v19, v14
	v_mov_b32_e32 v14, 0x409f6dae
	v_fmac_f32_e32 v8, 0, v19
	v_fmac_f32_e32 v14, v19, v8
	v_fmac_f32_e32 v10, v19, v9
	v_mov_b32_e32 v9, 0x4297a5cd
	v_fmac_f32_e32 v16, v19, v15
	v_mov_b32_e32 v15, 0x43b763ca
	v_fmac_f32_e32 v9, v19, v14
	;; [unrolled: 2-line block ×3, first 2 shown]
	v_fmac_f32_e32 v17, v19, v16
	v_fmac_f32_e32 v15, v19, v9
	v_mov_b32_e32 v8, 0x40a6b6ea
	v_mov_b32_e32 v10, 0x44155f56
	v_fmac_f32_e32 v12, v19, v11
	v_fmac_f32_e32 v18, v19, v17
	;; [unrolled: 1-line block ×6, first 2 shown]
	v_mov_b32_e32 v9, 0x4353b052
	v_fma_f32 v8, v19, v8, 1.0
	v_fmac_f32_e32 v9, v19, v10
	v_fma_f32 v10, v19, v13, 1.0
	v_div_scale_f32 v11, s[4:5], v8, v8, v10
	v_div_scale_f32 v13, vcc, v10, v8, v10
	v_mov_b32_e32 v12, 0x41c9a7fa
	v_fmac_f32_e32 v12, v19, v9
	v_mov_b32_e32 v9, 0x42947983
	v_fmac_f32_e32 v9, 0, v19
	;; [unrolled: 2-line block ×6, first 2 shown]
	v_rcp_f32_e32 v15, v11
	v_mov_b32_e32 v14, 0x4530a316
	v_fmac_f32_e32 v14, v19, v9
	v_mov_b32_e32 v9, 0x43a80bfb
	v_fmac_f32_e32 v9, v19, v14
	v_fma_f32 v14, -v11, v15, 1.0
	v_fmac_f32_e32 v15, v14, v15
	v_mul_f32_e32 v14, v13, v15
	v_fma_f32 v16, -v11, v14, v13
	v_fmac_f32_e32 v14, v16, v15
	v_fma_f32 v11, -v11, v14, v13
	v_div_fmas_f32 v11, v11, v15, v14
	v_div_scale_f32 v13, s[4:5], v9, v9, v12
	v_div_scale_f32 v14, vcc, v12, v9, v12
	v_mul_f32_e32 v15, v4, v4
	v_mov_b32_e32 v17, 0x3c0881c4
	v_mov_b32_e32 v18, 0xbe2aaa9d
	v_fmac_f32_e32 v17, 0xb94c1982, v15
	v_mov_b32_e32 v16, 0x3c0881c4
	s_movk_i32 s4, 0x1f8
	v_div_fixup_f32 v8, v11, v8, v10
	v_rcp_f32_e32 v11, v13
	v_fma_f32 v10, v15, v17, v18
	v_mul_f32_e32 v10, v15, v10
	v_fmac_f32_e32 v4, v4, v10
	v_fma_f32 v17, -v13, v11, 1.0
	v_fmac_f32_e32 v11, v17, v11
	v_mul_f32_e32 v17, v14, v11
	v_fma_f32 v19, -v13, v17, v14
	v_fmac_f32_e32 v17, v19, v11
	v_fma_f32 v13, -v13, v17, v14
	v_div_fmas_f32 v11, v13, v11, v17
	v_mov_b32_e32 v19, 0xbab64f3b
	v_fmac_f32_e32 v19, 0x37d75334, v15
	v_mov_b32_e32 v13, 0x3d2aabf7
	v_mov_b32_e32 v10, 0xbab64f3b
	v_fma_f32 v14, v15, v19, v13
	v_mov_b32_e32 v17, 0xbf000004
	v_fma_f32 v14, v15, v14, v17
	v_fma_f32 v14, v15, v14, 1.0
	v_and_b32_e32 v15, 1, v3
	v_cmp_eq_u32_e32 vcc, 0, v15
	v_cndmask_b32_e64 v4, -v4, v14, vcc
	v_lshlrev_b32_e32 v3, 30, v3
	v_cmp_class_f32_e64 vcc, v0, s4
	v_xor_b32_e32 v0, v1, v0
	v_and_b32_e32 v3, 0x80000000, v3
	v_div_fixup_f32 v9, v11, v9, v12
	v_mul_f32_e32 v7, v7, v9
	v_mul_f32_e32 v9, v6, v6
	v_fmac_f32_e32 v16, 0xb94c1982, v9
	v_fmac_f32_e32 v10, 0x37d75334, v9
	;; [unrolled: 1-line block ×4, first 2 shown]
	v_mul_f32_e32 v11, v9, v18
	v_fmac_f32_e32 v17, v9, v13
	v_and_b32_e32 v10, 1, v5
	v_lshlrev_b32_e32 v5, 30, v5
	v_fmac_f32_e32 v6, v6, v11
	v_fma_f32 v9, v9, v17, 1.0
	v_cmp_eq_u32_e64 s[4:5], 0, v10
	v_and_b32_e32 v5, 0x80000000, v5
	v_cndmask_b32_e64 v6, v9, v6, s[4:5]
	v_xor_b32_e32 v0, v0, v5
	v_xor_b32_e32 v3, v3, v4
	v_mov_b32_e32 v4, 0x7fc00000
	v_xor_b32_e32 v0, v0, v6
	s_mov_b32 s4, 0xf800000
	v_cndmask_b32_e32 v3, v4, v3, vcc
	v_cndmask_b32_e32 v0, v4, v0, vcc
	v_mul_f32_e32 v1, 0x4f800000, v2
	v_cmp_gt_f32_e32 vcc, s4, v2
	v_cndmask_b32_e32 v1, v2, v1, vcc
	v_sqrt_f32_e32 v2, v1
	v_mul_f32_e32 v0, v7, v0
	v_fma_f32 v0, v8, v3, -v0
	v_mul_f32_e32 v0, 0x3f4c422a, v0
	v_add_u32_e32 v3, -1, v2
	v_fma_f32 v4, -v3, v2, v1
	v_cmp_ge_f32_e64 s[4:5], 0, v4
	v_add_u32_e32 v4, 1, v2
	v_cndmask_b32_e64 v3, v2, v3, s[4:5]
	v_fma_f32 v2, -v4, v2, v1
	v_cmp_lt_f32_e64 s[4:5], 0, v2
	v_cndmask_b32_e64 v2, v3, v4, s[4:5]
	v_mul_f32_e32 v3, 0x37800000, v2
	v_cndmask_b32_e32 v2, v2, v3, vcc
	v_mov_b32_e32 v3, 0x260
	v_cmp_class_f32_e32 vcc, v1, v3
	v_cndmask_b32_e32 v1, v2, v1, vcc
	v_div_scale_f32 v2, s[4:5], v1, v1, v0
	v_div_scale_f32 v3, vcc, v0, v1, v0
	v_rcp_f32_e32 v4, v2
	v_fma_f32 v5, -v2, v4, 1.0
	v_fmac_f32_e32 v4, v5, v4
	v_mul_f32_e32 v5, v3, v4
	v_fma_f32 v6, -v2, v5, v3
	v_fmac_f32_e32 v5, v6, v4
	v_fma_f32 v2, -v2, v5, v3
	v_div_fmas_f32 v2, v2, v4, v5
	v_div_fixup_f32 v0, v2, v1, v0
.LBB17_123:
	s_or_b64 exec, exec, s[14:15]
                                        ; implicit-def: $vgpr2
.LBB17_124:
	s_andn2_saveexec_b64 s[12:13], s[12:13]
	s_cbranch_execz .LBB17_138
; %bb.125:
	s_mov_b32 s4, 0xc0a00000
	v_cmp_le_f32_e32 vcc, s4, v2
                                        ; implicit-def: $vgpr0
	s_and_saveexec_b64 s[4:5], vcc
	s_xor_b64 s[4:5], exec, s[4:5]
	s_cbranch_execz .LBB17_127
; %bb.126:
	v_mul_f32_e32 v0, v2, v2
	v_mov_b32_e32 v1, 0xce5691e2
	v_fmac_f32_e32 v1, 0, v0
	v_mov_b32_e32 v3, 0x52d295d0
	v_fmac_f32_e32 v3, v0, v1
	;; [unrolled: 2-line block ×12, first 2 shown]
	v_div_scale_f32 v0, s[6:7], v4, v4, v3
	v_div_scale_f32 v1, vcc, v3, v4, v3
	v_rcp_f32_e32 v5, v0
	v_fma_f32 v6, -v0, v5, 1.0
	v_fmac_f32_e32 v5, v6, v5
	v_mul_f32_e32 v6, v1, v5
	v_fma_f32 v7, -v0, v6, v1
	v_fmac_f32_e32 v6, v7, v5
	v_fma_f32 v0, -v0, v6, v1
	v_div_fmas_f32 v0, v0, v5, v6
	v_mov_b32_e32 v1, 0xc16ae95a
	v_mov_b32_e32 v5, 0xc244dfb3
	v_fmac_f32_e32 v1, v2, v2
	v_fmac_f32_e32 v5, v2, v2
	v_div_fixup_f32 v0, v0, v4, v3
	v_mul_f32_e64 v0, v0, -v2
	v_mul_f32_e32 v0, v1, v0
	v_mul_f32_e32 v0, v5, v0
                                        ; implicit-def: $vgpr2
.LBB17_127:
	s_andn2_saveexec_b64 s[14:15], s[4:5]
	s_cbranch_execz .LBB17_137
; %bb.128:
	v_sub_f32_e32 v0, 0xc016cbe4, v2
	v_and_b32_e32 v1, 0x7fffffff, v0
	s_brev_b32 s4, 18
	v_cmp_nlt_f32_e64 s[16:17], |v0|, s4
	v_lshrrev_b32_e32 v7, 23, v1
                                        ; implicit-def: $vgpr3
                                        ; implicit-def: $vgpr4
	s_and_saveexec_b64 s[4:5], s[16:17]
	s_xor_b64 s[18:19], exec, s[4:5]
	s_cbranch_execz .LBB17_130
; %bb.129:
	v_and_b32_e32 v3, 0x7fffff, v1
	v_or_b32_e32 v6, 0x800000, v3
	s_mov_b32 s4, 0xfe5163ab
	v_mad_u64_u32 v[3:4], s[4:5], v6, s4, 0
	v_mov_b32_e32 v5, 0
	s_mov_b32 s4, 0x3c439041
	v_mad_u64_u32 v[8:9], s[4:5], v6, s4, v[4:5]
	s_mov_b32 s4, 0xdb629599
	v_add_u32_e32 v13, 0xffffff88, v7
	v_mov_b32_e32 v4, v9
	v_mad_u64_u32 v[9:10], s[4:5], v6, s4, v[4:5]
	s_mov_b32 s4, 0xf534ddc0
	v_not_b32_e32 v14, 63
	v_mov_b32_e32 v4, v10
	v_mad_u64_u32 v[10:11], s[4:5], v6, s4, v[4:5]
	s_mov_b32 s4, 0xfc2757d1
	v_cmp_lt_u32_e32 vcc, 63, v13
	v_mov_b32_e32 v4, v11
	v_mad_u64_u32 v[11:12], s[4:5], v6, s4, v[4:5]
	v_cndmask_b32_e32 v4, 0, v14, vcc
	v_add_u32_e32 v14, v4, v13
	v_mov_b32_e32 v4, v12
	s_mov_b32 s4, 0x4e441529
	v_mad_u64_u32 v[12:13], s[4:5], v6, s4, v[4:5]
	v_not_b32_e32 v15, 31
	v_cmp_lt_u32_e64 s[4:5], 31, v14
	v_cndmask_b32_e64 v4, 0, v15, s[4:5]
	v_add_u32_e32 v14, v4, v14
	v_mov_b32_e32 v4, v13
	s_mov_b32 s6, 0xa2f9836e
	v_mad_u64_u32 v[4:5], s[6:7], v6, s6, v[4:5]
	v_cmp_lt_u32_e64 s[6:7], 31, v14
	v_cndmask_b32_e64 v6, 0, v15, s[6:7]
	v_cndmask_b32_e32 v13, v12, v10, vcc
	v_cndmask_b32_e32 v4, v4, v11, vcc
	;; [unrolled: 1-line block ×3, first 2 shown]
	v_add_u32_e32 v6, v6, v14
	v_cndmask_b32_e64 v14, v4, v13, s[4:5]
	v_cndmask_b32_e64 v4, v5, v4, s[4:5]
	v_cndmask_b32_e32 v5, v11, v9, vcc
	v_cndmask_b32_e64 v11, v13, v5, s[4:5]
	v_cndmask_b32_e64 v4, v4, v14, s[6:7]
	;; [unrolled: 1-line block ×3, first 2 shown]
	v_sub_u32_e32 v13, 32, v6
	v_alignbit_b32 v14, v4, v12, v13
	v_cmp_eq_u32_e64 s[8:9], 0, v6
	v_cndmask_b32_e64 v6, v14, v4, s[8:9]
	v_cndmask_b32_e32 v4, v10, v8, vcc
	v_cndmask_b32_e64 v5, v5, v4, s[4:5]
	v_cndmask_b32_e64 v8, v11, v5, s[6:7]
	v_alignbit_b32 v10, v12, v8, v13
	v_cndmask_b32_e32 v3, v9, v3, vcc
	v_cndmask_b32_e64 v10, v10, v12, s[8:9]
	v_bfe_u32 v14, v6, 29, 1
	v_cndmask_b32_e64 v3, v4, v3, s[4:5]
	v_alignbit_b32 v11, v6, v10, 30
	v_sub_u32_e32 v15, 0, v14
	v_cndmask_b32_e64 v3, v5, v3, s[6:7]
	v_xor_b32_e32 v11, v11, v15
	v_alignbit_b32 v4, v8, v3, v13
	v_cndmask_b32_e64 v4, v4, v8, s[8:9]
	v_ffbh_u32_e32 v8, v11
	v_alignbit_b32 v5, v10, v4, 30
	v_min_u32_e32 v8, 32, v8
	v_alignbit_b32 v3, v4, v3, 30
	v_xor_b32_e32 v5, v5, v15
	v_sub_u32_e32 v9, 31, v8
	v_xor_b32_e32 v3, v3, v15
	v_alignbit_b32 v10, v11, v5, v9
	v_alignbit_b32 v3, v5, v3, v9
	v_alignbit_b32 v4, v10, v3, 9
	v_ffbh_u32_e32 v5, v4
	v_min_u32_e32 v5, 32, v5
	v_lshrrev_b32_e32 v12, 29, v6
	v_not_b32_e32 v9, v5
	v_alignbit_b32 v3, v4, v3, v9
	v_lshlrev_b32_e32 v4, 31, v12
	v_or_b32_e32 v9, 0x33000000, v4
	v_add_lshl_u32 v5, v5, v8, 23
	v_lshrrev_b32_e32 v3, 9, v3
	v_sub_u32_e32 v5, v9, v5
	v_or_b32_e32 v4, 0.5, v4
	v_lshlrev_b32_e32 v8, 23, v8
	v_or_b32_e32 v3, v5, v3
	v_lshrrev_b32_e32 v5, 9, v10
	v_sub_u32_e32 v4, v4, v8
	v_or_b32_e32 v4, v5, v4
	s_mov_b32 s4, 0x3fc90fda
	v_mul_f32_e32 v5, 0x3fc90fda, v4
	v_fma_f32 v8, v4, s4, -v5
	v_fmac_f32_e32 v8, 0x33a22168, v4
	v_fmac_f32_e32 v8, 0x3fc90fda, v3
	v_lshrrev_b32_e32 v3, 30, v6
	v_add_f32_e32 v4, v5, v8
	v_add_u32_e32 v3, v14, v3
	s_andn2_saveexec_b64 s[4:5], s[18:19]
	s_cbranch_execz .LBB17_132
	s_branch .LBB17_131
.LBB17_130:
	s_andn2_saveexec_b64 s[4:5], s[18:19]
	s_cbranch_execz .LBB17_132
.LBB17_131:
	s_mov_b32 s6, 0x3f22f983
	v_mul_f32_e64 v3, |v0|, s6
	v_rndne_f32_e32 v5, v3
	s_mov_b32 s6, 0xbfc90fda
	v_cvt_i32_f32_e32 v3, v5
	v_fma_f32 v4, v5, s6, |v0|
	v_fmac_f32_e32 v4, 0xb3a22168, v5
	v_fmac_f32_e32 v4, 0xa7c234c4, v5
.LBB17_132:
	s_or_b64 exec, exec, s[4:5]
                                        ; implicit-def: $vgpr5
                                        ; implicit-def: $vgpr6
	s_and_saveexec_b64 s[4:5], s[16:17]
	s_xor_b64 s[16:17], exec, s[4:5]
	s_cbranch_execz .LBB17_134
; %bb.133:
	v_and_b32_e32 v5, 0x7fffff, v1
	v_or_b32_e32 v14, 0x800000, v5
	s_mov_b32 s4, 0xfe5163ab
	v_mad_u64_u32 v[5:6], s[4:5], v14, s4, 0
	v_mov_b32_e32 v9, 0
	s_mov_b32 s4, 0x3c439041
	v_mov_b32_e32 v8, v6
	v_mad_u64_u32 v[10:11], s[4:5], v14, s4, v[8:9]
	s_mov_b32 s4, 0xdb629599
	v_add_u32_e32 v15, 0xffffff88, v7
	v_mov_b32_e32 v8, v11
	v_mad_u64_u32 v[11:12], s[4:5], v14, s4, v[8:9]
	s_mov_b32 s4, 0xf534ddc0
	v_not_b32_e32 v16, 63
	v_mov_b32_e32 v8, v12
	v_mad_u64_u32 v[12:13], s[4:5], v14, s4, v[8:9]
	s_mov_b32 s4, 0xfc2757d1
	v_cmp_lt_u32_e32 vcc, 63, v15
	v_mov_b32_e32 v8, v13
	v_mad_u64_u32 v[6:7], s[4:5], v14, s4, v[8:9]
	v_cndmask_b32_e32 v8, 0, v16, vcc
	v_add_u32_e32 v13, v8, v15
	v_mov_b32_e32 v8, v7
	s_mov_b32 s4, 0x4e441529
	v_mad_u64_u32 v[7:8], s[4:5], v14, s4, v[8:9]
	v_not_b32_e32 v15, 31
	v_cmp_lt_u32_e64 s[4:5], 31, v13
	s_mov_b32 s6, 0xa2f9836e
	v_cndmask_b32_e64 v16, 0, v15, s[4:5]
	v_mad_u64_u32 v[8:9], s[6:7], v14, s6, v[8:9]
	v_add_u32_e32 v13, v16, v13
	v_cmp_lt_u32_e64 s[6:7], 31, v13
	v_cndmask_b32_e64 v14, 0, v15, s[6:7]
	v_add_u32_e32 v13, v14, v13
	v_cndmask_b32_e32 v14, v7, v12, vcc
	v_cndmask_b32_e32 v8, v8, v6, vcc
	;; [unrolled: 1-line block ×4, first 2 shown]
	v_cndmask_b32_e64 v15, v8, v14, s[4:5]
	v_cndmask_b32_e64 v7, v7, v8, s[4:5]
	;; [unrolled: 1-line block ×3, first 2 shown]
	v_cndmask_b32_e32 v10, v12, v10, vcc
	v_cndmask_b32_e64 v7, v7, v15, s[6:7]
	v_cndmask_b32_e64 v9, v15, v8, s[6:7]
	v_sub_u32_e32 v14, 32, v13
	v_cndmask_b32_e64 v6, v6, v10, s[4:5]
	v_alignbit_b32 v15, v7, v9, v14
	v_cmp_eq_u32_e64 s[8:9], 0, v13
	v_cndmask_b32_e64 v8, v8, v6, s[6:7]
	v_cndmask_b32_e32 v5, v11, v5, vcc
	v_cndmask_b32_e64 v7, v15, v7, s[8:9]
	v_alignbit_b32 v12, v9, v8, v14
	v_cndmask_b32_e64 v5, v10, v5, s[4:5]
	v_cndmask_b32_e64 v9, v12, v9, s[8:9]
	v_bfe_u32 v15, v7, 29, 1
	v_cndmask_b32_e64 v5, v6, v5, s[6:7]
	v_alignbit_b32 v12, v7, v9, 30
	v_sub_u32_e32 v16, 0, v15
	v_alignbit_b32 v6, v8, v5, v14
	v_xor_b32_e32 v12, v12, v16
	v_cndmask_b32_e64 v6, v6, v8, s[8:9]
	v_alignbit_b32 v8, v9, v6, 30
	v_ffbh_u32_e32 v9, v12
	v_min_u32_e32 v9, 32, v9
	v_alignbit_b32 v5, v6, v5, 30
	v_xor_b32_e32 v8, v8, v16
	v_sub_u32_e32 v10, 31, v9
	v_xor_b32_e32 v5, v5, v16
	v_alignbit_b32 v11, v12, v8, v10
	v_alignbit_b32 v5, v8, v5, v10
	;; [unrolled: 1-line block ×3, first 2 shown]
	v_ffbh_u32_e32 v8, v6
	v_min_u32_e32 v8, 32, v8
	v_lshrrev_b32_e32 v13, 29, v7
	v_not_b32_e32 v10, v8
	v_alignbit_b32 v5, v6, v5, v10
	v_lshlrev_b32_e32 v6, 31, v13
	v_or_b32_e32 v10, 0x33000000, v6
	v_add_lshl_u32 v8, v8, v9, 23
	v_lshrrev_b32_e32 v5, 9, v5
	v_sub_u32_e32 v8, v10, v8
	v_or_b32_e32 v6, 0.5, v6
	v_lshlrev_b32_e32 v9, 23, v9
	v_or_b32_e32 v5, v8, v5
	v_lshrrev_b32_e32 v8, 9, v11
	v_sub_u32_e32 v6, v6, v9
	v_or_b32_e32 v6, v8, v6
	s_mov_b32 s4, 0x3fc90fda
	v_mul_f32_e32 v8, 0x3fc90fda, v6
	v_fma_f32 v9, v6, s4, -v8
	v_fmac_f32_e32 v9, 0x33a22168, v6
	v_fmac_f32_e32 v9, 0x3fc90fda, v5
	v_lshrrev_b32_e32 v5, 30, v7
	v_add_f32_e32 v6, v8, v9
	v_add_u32_e32 v5, v15, v5
	s_andn2_saveexec_b64 s[4:5], s[16:17]
	s_cbranch_execnz .LBB17_135
	s_branch .LBB17_136
.LBB17_134:
	s_andn2_saveexec_b64 s[4:5], s[16:17]
	s_cbranch_execz .LBB17_136
.LBB17_135:
	s_mov_b32 s6, 0x3f22f983
	v_mul_f32_e64 v5, |v0|, s6
	v_rndne_f32_e32 v7, v5
	s_mov_b32 s6, 0xbfc90fda
	v_cvt_i32_f32_e32 v5, v7
	v_fma_f32 v6, v7, s6, |v0|
	v_fmac_f32_e32 v6, 0xb3a22168, v7
	v_fmac_f32_e32 v6, 0xa7c234c4, v7
.LBB17_136:
	s_or_b64 exec, exec, s[4:5]
	s_mov_b32 s6, 0xc0a00000
	v_div_scale_f32 v7, s[4:5], v2, v2, s6
	v_div_scale_f32 v8, vcc, s6, v2, s6
	v_mov_b32_e32 v14, 0x3a15c4d9
	v_mov_b32_e32 v15, 0x3d8cfeeb
	;; [unrolled: 1-line block ×8, first 2 shown]
	v_rcp_f32_e32 v9, v7
	v_fma_f32 v10, -v7, v9, 1.0
	v_fmac_f32_e32 v9, v10, v9
	v_mul_f32_e32 v10, v8, v9
	v_fma_f32 v11, -v7, v10, v8
	v_fmac_f32_e32 v10, v11, v9
	v_fma_f32 v7, -v7, v10, v8
	v_div_fmas_f32 v7, v7, v9, v10
	v_mov_b32_e32 v8, 0x3a47c962
	v_mov_b32_e32 v9, 0x3d95ca45
	;; [unrolled: 1-line block ×4, first 2 shown]
	v_div_fixup_f32 v7, v7, v2, s6
	v_mul_f32_e32 v7, v7, v7
	v_fmac_f32_e32 v8, 0, v7
	v_fmac_f32_e32 v14, 0, v7
	;; [unrolled: 1-line block ×12, first 2 shown]
	v_fma_f32 v8, v7, v19, 1.0
	v_fma_f32 v9, v7, v13, 1.0
	v_div_scale_f32 v10, s[4:5], v8, v8, v9
	v_div_scale_f32 v11, vcc, v9, v8, v9
	v_mov_b32_e32 v12, 0x3d513fd3
	v_mov_b32_e32 v13, 0x409f6dae
	v_fmac_f32_e32 v12, 0, v7
	v_mov_b32_e32 v15, 0x4297a5cd
	v_fmac_f32_e32 v13, v7, v12
	;; [unrolled: 2-line block ×4, first 2 shown]
	s_mov_b32 s6, 0x40a00000
	v_fmac_f32_e32 v17, v7, v16
	v_div_scale_f32 v16, s[4:5], v2, v2, s6
	v_rcp_f32_e32 v14, v10
	v_mov_b32_e32 v12, 0x44840e5d
	v_mov_b32_e32 v13, 0x46156947
	;; [unrolled: 1-line block ×3, first 2 shown]
	v_fma_f32 v18, -v10, v14, 1.0
	v_fmac_f32_e32 v14, v18, v14
	v_mul_f32_e32 v18, v11, v14
	v_fma_f32 v19, -v10, v18, v11
	v_fmac_f32_e32 v18, v19, v14
	v_fma_f32 v10, -v10, v18, v11
	v_div_fmas_f32 v10, v10, v14, v18
	v_mov_b32_e32 v18, 0x42947983
	v_fmac_f32_e32 v18, 0, v7
	v_fmac_f32_e32 v12, v7, v18
	v_mov_b32_e32 v18, 0x459bd349
	v_fmac_f32_e32 v18, v7, v12
	v_mov_b32_e32 v12, 0x45f9e855
	;; [unrolled: 2-line block ×4, first 2 shown]
	v_fmac_f32_e32 v19, v7, v17
	v_fmac_f32_e32 v15, v7, v12
	v_div_scale_f32 v12, vcc, s6, v2, s6
	v_mov_b32_e32 v14, 0x41c9a7fa
	v_mov_b32_e32 v18, 0x43a80bfb
	v_fmac_f32_e32 v11, v7, v19
	v_fmac_f32_e32 v18, v7, v15
	;; [unrolled: 1-line block ×3, first 2 shown]
	v_div_scale_f32 v7, s[4:5], v18, v18, v14
	v_div_scale_f32 v15, s[4:5], v14, v18, v14
	v_mul_f32_e32 v13, v4, v4
	v_div_fixup_f32 v8, v10, v8, v9
	v_mov_b32_e32 v9, 0x3c0881c4
	v_rcp_f32_e32 v11, v16
	v_fmac_f32_e32 v9, 0xb94c1982, v13
	v_mov_b32_e32 v10, 0xbe2aaa9d
	v_fma_f32 v9, v13, v9, v10
	v_mul_f32_e32 v9, v13, v9
	v_fmac_f32_e32 v4, v4, v9
	v_fma_f32 v9, -v16, v11, 1.0
	v_fmac_f32_e32 v11, v9, v11
	v_mul_f32_e32 v9, v12, v11
	v_fma_f32 v19, -v16, v9, v12
	v_fmac_f32_e32 v9, v19, v11
	v_fma_f32 v12, -v16, v9, v12
	v_rcp_f32_e32 v16, v7
	v_div_fmas_f32 v9, v12, v11, v9
	s_mov_b64 vcc, s[4:5]
	v_mov_b32_e32 v17, 0x3c0881c4
	v_fma_f32 v11, -v7, v16, 1.0
	v_fmac_f32_e32 v16, v11, v16
	v_mul_f32_e32 v11, v15, v16
	v_fma_f32 v12, -v7, v11, v15
	v_fmac_f32_e32 v11, v12, v16
	v_fma_f32 v7, -v7, v11, v15
	v_div_fmas_f32 v7, v7, v16, v11
	v_mov_b32_e32 v12, 0xbab64f3b
	v_fmac_f32_e32 v12, 0x37d75334, v13
	v_mov_b32_e32 v15, 0x3d2aabf7
	v_mov_b32_e32 v19, 0xbab64f3b
	v_fma_f32 v11, v13, v12, v15
	v_mov_b32_e32 v12, 0xbf000004
	v_div_fixup_f32 v9, v9, v2, s6
	v_fma_f32 v11, v13, v11, v12
	v_fma_f32 v11, v13, v11, 1.0
	v_and_b32_e32 v13, 1, v3
	v_cmp_eq_u32_e32 vcc, 0, v13
	s_movk_i32 s4, 0x1f8
	v_cndmask_b32_e64 v4, -v4, v11, vcc
	v_lshlrev_b32_e32 v3, 30, v3
	v_cmp_class_f32_e64 vcc, v0, s4
	v_div_fixup_f32 v7, v7, v18, v14
	v_mul_f32_e32 v7, v9, v7
	v_mul_f32_e32 v9, v6, v6
	v_fmac_f32_e32 v17, 0xb94c1982, v9
	v_fmac_f32_e32 v10, v9, v17
	;; [unrolled: 1-line block ×3, first 2 shown]
	v_mul_f32_e32 v10, v9, v10
	v_fmac_f32_e32 v15, v9, v19
	v_fmac_f32_e32 v6, v6, v10
	;; [unrolled: 1-line block ×3, first 2 shown]
	v_and_b32_e32 v10, 1, v5
	v_lshlrev_b32_e32 v5, 30, v5
	v_fma_f32 v9, v9, v12, 1.0
	v_cmp_eq_u32_e64 s[4:5], 0, v10
	v_and_b32_e32 v5, 0x80000000, v5
	v_xor_b32_e32 v0, v1, v0
	v_and_b32_e32 v3, 0x80000000, v3
	v_cndmask_b32_e64 v6, v9, v6, s[4:5]
	v_xor_b32_e32 v0, v0, v5
	v_xor_b32_e32 v3, v3, v4
	v_mov_b32_e32 v4, 0x7fc00000
	v_xor_b32_e32 v0, v0, v6
	s_mov_b32 s4, 0x8f800000
	v_cndmask_b32_e32 v3, v4, v3, vcc
	v_cndmask_b32_e32 v0, v4, v0, vcc
	v_mul_f32_e32 v1, 0xcf800000, v2
	v_cmp_lt_f32_e32 vcc, s4, v2
	v_cndmask_b32_e64 v1, -v2, v1, vcc
	v_sqrt_f32_e32 v2, v1
	v_mul_f32_e32 v0, v7, v0
	v_fmac_f32_e32 v0, v8, v3
	v_mul_f32_e32 v0, 0x3f4c422a, v0
	v_add_u32_e32 v3, -1, v2
	v_fma_f32 v4, -v3, v2, v1
	v_cmp_ge_f32_e64 s[4:5], 0, v4
	v_add_u32_e32 v4, 1, v2
	v_cndmask_b32_e64 v3, v2, v3, s[4:5]
	v_fma_f32 v2, -v4, v2, v1
	v_cmp_lt_f32_e64 s[4:5], 0, v2
	v_cndmask_b32_e64 v2, v3, v4, s[4:5]
	v_mul_f32_e32 v3, 0x37800000, v2
	v_cndmask_b32_e32 v2, v2, v3, vcc
	v_mov_b32_e32 v3, 0x260
	v_cmp_class_f32_e32 vcc, v1, v3
	v_cndmask_b32_e32 v1, v2, v1, vcc
	v_div_scale_f32 v2, s[4:5], v1, v1, v0
	v_div_scale_f32 v3, vcc, v0, v1, v0
	v_rcp_f32_e32 v4, v2
	v_fma_f32 v5, -v2, v4, 1.0
	v_fmac_f32_e32 v4, v5, v4
	v_mul_f32_e32 v5, v3, v4
	v_fma_f32 v6, -v2, v5, v3
	v_fmac_f32_e32 v5, v6, v4
	v_fma_f32 v2, -v2, v5, v3
	v_div_fmas_f32 v2, v2, v4, v5
	v_div_fixup_f32 v0, v2, v1, v0
.LBB17_137:
	s_or_b64 exec, exec, s[14:15]
	v_xor_b32_e32 v0, 0x80000000, v0
.LBB17_138:
	s_or_b64 exec, exec, s[12:13]
	s_or_b64 exec, exec, s[10:11]
	s_setpc_b64 s[30:31]
.LBB17_139:
	s_or_saveexec_b64 s[20:21], s[20:21]
	v_mov_b32_e32 v2, 0x7f800001
	s_xor_b64 exec, exec, s[20:21]
	s_cbranch_execz .LBB17_30
.LBB17_140:
	v_cmp_ne_u16_e32 vcc, 0, v3
	s_andn2_b64 s[18:19], s[18:19], exec
	s_and_b64 s[22:23], vcc, exec
	v_mov_b32_e32 v2, 0
	s_or_b64 s[18:19], s[18:19], s[22:23]
	s_or_b64 exec, exec, s[20:21]
	s_and_saveexec_b64 s[20:21], s[18:19]
	s_cbranch_execnz .LBB17_31
	s_branch .LBB17_32
.LBB17_141:
	s_or_saveexec_b64 s[20:21], s[20:21]
	v_mov_b32_e32 v2, 0x7f800001
	s_xor_b64 exec, exec, s[20:21]
	s_cbranch_execz .LBB17_97
.LBB17_142:
	v_cmp_ne_u16_e32 vcc, 0, v3
	s_andn2_b64 s[18:19], s[18:19], exec
	s_and_b64 s[22:23], vcc, exec
	v_mov_b32_e32 v2, 0
	s_or_b64 s[18:19], s[18:19], s[22:23]
	s_or_b64 exec, exec, s[20:21]
	s_and_saveexec_b64 s[20:21], s[18:19]
	s_cbranch_execnz .LBB17_98
	s_branch .LBB17_99
.Lfunc_end17:
	.size	_ZN2at6native6invokeIZZZNS0_12_GLOBAL__N_121bessel_j1_kernel_cudaERNS_18TensorIteratorBaseEENKUlvE_clEvENKUlvE0_clEvEUlfE_i15function_traitsIS7_EEENT1_11result_typeERKT_PrKPcPKT0_PKN3c1010ScalarTypeEi, .Lfunc_end17-_ZN2at6native6invokeIZZZNS0_12_GLOBAL__N_121bessel_j1_kernel_cudaERNS_18TensorIteratorBaseEENKUlvE_clEvENKUlvE0_clEvEUlfE_i15function_traitsIS7_EEENT1_11result_typeERKT_PrKPcPKT0_PKN3c1010ScalarTypeEi
                                        ; -- End function
	.set .L_ZN2at6native6invokeIZZZNS0_12_GLOBAL__N_121bessel_j1_kernel_cudaERNS_18TensorIteratorBaseEENKUlvE_clEvENKUlvE0_clEvEUlfE_i15function_traitsIS7_EEENT1_11result_typeERKT_PrKPcPKT0_PKN3c1010ScalarTypeEi.num_vgpr, 20
	.set .L_ZN2at6native6invokeIZZZNS0_12_GLOBAL__N_121bessel_j1_kernel_cudaERNS_18TensorIteratorBaseEENKUlvE_clEvENKUlvE0_clEvEUlfE_i15function_traitsIS7_EEENT1_11result_typeERKT_PrKPcPKT0_PKN3c1010ScalarTypeEi.num_agpr, 0
	.set .L_ZN2at6native6invokeIZZZNS0_12_GLOBAL__N_121bessel_j1_kernel_cudaERNS_18TensorIteratorBaseEENKUlvE_clEvENKUlvE0_clEvEUlfE_i15function_traitsIS7_EEENT1_11result_typeERKT_PrKPcPKT0_PKN3c1010ScalarTypeEi.numbered_sgpr, 32
	.set .L_ZN2at6native6invokeIZZZNS0_12_GLOBAL__N_121bessel_j1_kernel_cudaERNS_18TensorIteratorBaseEENKUlvE_clEvENKUlvE0_clEvEUlfE_i15function_traitsIS7_EEENT1_11result_typeERKT_PrKPcPKT0_PKN3c1010ScalarTypeEi.num_named_barrier, 0
	.set .L_ZN2at6native6invokeIZZZNS0_12_GLOBAL__N_121bessel_j1_kernel_cudaERNS_18TensorIteratorBaseEENKUlvE_clEvENKUlvE0_clEvEUlfE_i15function_traitsIS7_EEENT1_11result_typeERKT_PrKPcPKT0_PKN3c1010ScalarTypeEi.private_seg_size, 0
	.set .L_ZN2at6native6invokeIZZZNS0_12_GLOBAL__N_121bessel_j1_kernel_cudaERNS_18TensorIteratorBaseEENKUlvE_clEvENKUlvE0_clEvEUlfE_i15function_traitsIS7_EEENT1_11result_typeERKT_PrKPcPKT0_PKN3c1010ScalarTypeEi.uses_vcc, 1
	.set .L_ZN2at6native6invokeIZZZNS0_12_GLOBAL__N_121bessel_j1_kernel_cudaERNS_18TensorIteratorBaseEENKUlvE_clEvENKUlvE0_clEvEUlfE_i15function_traitsIS7_EEENT1_11result_typeERKT_PrKPcPKT0_PKN3c1010ScalarTypeEi.uses_flat_scratch, 0
	.set .L_ZN2at6native6invokeIZZZNS0_12_GLOBAL__N_121bessel_j1_kernel_cudaERNS_18TensorIteratorBaseEENKUlvE_clEvENKUlvE0_clEvEUlfE_i15function_traitsIS7_EEENT1_11result_typeERKT_PrKPcPKT0_PKN3c1010ScalarTypeEi.has_dyn_sized_stack, 0
	.set .L_ZN2at6native6invokeIZZZNS0_12_GLOBAL__N_121bessel_j1_kernel_cudaERNS_18TensorIteratorBaseEENKUlvE_clEvENKUlvE0_clEvEUlfE_i15function_traitsIS7_EEENT1_11result_typeERKT_PrKPcPKT0_PKN3c1010ScalarTypeEi.has_recursion, 0
	.set .L_ZN2at6native6invokeIZZZNS0_12_GLOBAL__N_121bessel_j1_kernel_cudaERNS_18TensorIteratorBaseEENKUlvE_clEvENKUlvE0_clEvEUlfE_i15function_traitsIS7_EEENT1_11result_typeERKT_PrKPcPKT0_PKN3c1010ScalarTypeEi.has_indirect_call, 0
	.section	.AMDGPU.csdata,"",@progbits
; Function info:
; codeLenInByte = 8024
; TotalNumSgprs: 36
; NumVgprs: 20
; ScratchSize: 0
; MemoryBound: 1
	.section	.text._ZN2at6native32elementwise_kernel_manual_unrollILi128ELi4EZNS0_15gpu_kernel_implIZZZNS0_12_GLOBAL__N_121bessel_j1_kernel_cudaERNS_18TensorIteratorBaseEENKUlvE_clEvENKUlvE0_clEvEUlfE_EEvS5_RKT_EUlibE_EEviT1_,"axG",@progbits,_ZN2at6native32elementwise_kernel_manual_unrollILi128ELi4EZNS0_15gpu_kernel_implIZZZNS0_12_GLOBAL__N_121bessel_j1_kernel_cudaERNS_18TensorIteratorBaseEENKUlvE_clEvENKUlvE0_clEvEUlfE_EEvS5_RKT_EUlibE_EEviT1_,comdat
	.globl	_ZN2at6native32elementwise_kernel_manual_unrollILi128ELi4EZNS0_15gpu_kernel_implIZZZNS0_12_GLOBAL__N_121bessel_j1_kernel_cudaERNS_18TensorIteratorBaseEENKUlvE_clEvENKUlvE0_clEvEUlfE_EEvS5_RKT_EUlibE_EEviT1_ ; -- Begin function _ZN2at6native32elementwise_kernel_manual_unrollILi128ELi4EZNS0_15gpu_kernel_implIZZZNS0_12_GLOBAL__N_121bessel_j1_kernel_cudaERNS_18TensorIteratorBaseEENKUlvE_clEvENKUlvE0_clEvEUlfE_EEvS5_RKT_EUlibE_EEviT1_
	.p2align	8
	.type	_ZN2at6native32elementwise_kernel_manual_unrollILi128ELi4EZNS0_15gpu_kernel_implIZZZNS0_12_GLOBAL__N_121bessel_j1_kernel_cudaERNS_18TensorIteratorBaseEENKUlvE_clEvENKUlvE0_clEvEUlfE_EEvS5_RKT_EUlibE_EEviT1_,@function
_ZN2at6native32elementwise_kernel_manual_unrollILi128ELi4EZNS0_15gpu_kernel_implIZZZNS0_12_GLOBAL__N_121bessel_j1_kernel_cudaERNS_18TensorIteratorBaseEENKUlvE_clEvENKUlvE0_clEvEUlfE_EEvS5_RKT_EUlibE_EEviT1_: ; @_ZN2at6native32elementwise_kernel_manual_unrollILi128ELi4EZNS0_15gpu_kernel_implIZZZNS0_12_GLOBAL__N_121bessel_j1_kernel_cudaERNS_18TensorIteratorBaseEENKUlvE_clEvENKUlvE0_clEvEUlfE_EEvS5_RKT_EUlibE_EEviT1_
; %bb.0:
	v_mov_b32_e32 v1, 0
	global_load_ushort v1, v1, s[4:5] offset:33
	s_load_dword s54, s[4:5], 0x0
	s_load_dwordx2 s[28:29], s[4:5], 0x18
	s_load_dwordx4 s[36:39], s[4:5], 0x8
	v_lshl_or_b32 v23, s6, 9, v0
	s_add_u32 s0, s0, s7
	v_mov_b32_e32 v2, 8
	v_or_b32_e32 v25, 0x180, v23
	s_addc_u32 s1, s1, 0
	s_mov_b64 s[34:35], 0
	s_waitcnt lgkmcnt(0)
	v_cmp_le_i32_e32 vcc, s54, v25
	s_mov_b64 s[42:43], 0
	s_mov_b32 s32, 0
	s_waitcnt vmcnt(0)
	v_readfirstlane_b32 s33, v1
	v_lshrrev_b32_sdwa v24, v2, v1 dst_sel:DWORD dst_unused:UNUSED_PAD src0_sel:DWORD src1_sel:WORD_0
	s_and_saveexec_b64 s[4:5], vcc
	s_xor_b64 s[40:41], exec, s[4:5]
	s_cbranch_execz .LBB18_508
; %bb.1:
	v_cmp_gt_i32_e32 vcc, s54, v23
	s_mov_b64 s[4:5], -1
	s_mov_b64 s[48:49], 0
	s_and_saveexec_b64 s[44:45], vcc
	s_cbranch_execz .LBB18_124
; %bb.2:
	s_getpc_b64 s[4:5]
	s_add_u32 s4, s4, _ZN2at6native6invokeIZZZNS0_12_GLOBAL__N_121bessel_j1_kernel_cudaERNS_18TensorIteratorBaseEENKUlvE_clEvENKUlvE0_clEvEUlfE_i15function_traitsIS7_EEENT1_11result_typeERKT_PrKPcPKT0_PKN3c1010ScalarTypeEi@rel32@lo+4
	s_addc_u32 s5, s5, _ZN2at6native6invokeIZZZNS0_12_GLOBAL__N_121bessel_j1_kernel_cudaERNS_18TensorIteratorBaseEENKUlvE_clEvENKUlvE0_clEvEUlfE_i15function_traitsIS7_EEENT1_11result_typeERKT_PrKPcPKT0_PKN3c1010ScalarTypeEi@rel32@hi+12
	v_mov_b32_e32 v0, s38
	v_mov_b32_e32 v1, s39
	;; [unrolled: 1-line block ×5, first 2 shown]
	s_swappc_b64 s[30:31], s[4:5]
	v_mul_lo_u32 v1, v23, s28
	v_mov_b32_e32 v3, s37
	s_and_b32 s12, s33, 0xff
	s_cmp_lt_i32 s12, 11
	v_ashrrev_i32_e32 v4, 31, v1
	v_add_co_u32_e32 v2, vcc, s36, v1
	v_addc_co_u32_e32 v3, vcc, v3, v4, vcc
	s_cbranch_scc1 .LBB18_9
; %bb.3:
	s_and_b32 s13, 0xffff, s12
	s_cmp_gt_i32 s13, 25
	s_cbranch_scc0 .LBB18_12
; %bb.4:
	s_cmp_gt_i32 s13, 28
	s_cbranch_scc0 .LBB18_13
; %bb.5:
	;; [unrolled: 3-line block ×4, first 2 shown]
	s_mov_b64 s[8:9], 0
	s_mov_b64 s[4:5], -1
	s_cmp_eq_u32 s13, 46
	s_mov_b64 s[6:7], 0
	s_cbranch_scc0 .LBB18_16
; %bb.8:
	v_bfe_u32 v1, v0, 16, 1
	s_movk_i32 s4, 0x7fff
	v_add3_u32 v1, v0, v1, s4
	v_cmp_o_f32_e32 vcc, v0, v0
	v_mov_b32_e32 v4, 0x7fc0
	v_cndmask_b32_sdwa v1, v4, v1, vcc dst_sel:DWORD dst_unused:UNUSED_PAD src0_sel:DWORD src1_sel:WORD_1
	global_store_dword v[2:3], v1, off
	s_mov_b64 s[6:7], -1
	s_mov_b64 s[4:5], 0
	s_branch .LBB18_16
.LBB18_9:
	s_mov_b64 s[4:5], 0
	s_mov_b64 s[6:7], 0
	s_cbranch_execnz .LBB18_84
.LBB18_10:
	s_andn2_b64 vcc, exec, s[6:7]
	s_cbranch_vccnz .LBB18_122
.LBB18_11:
	v_add_u32_e32 v23, 0x80, v23
	s_mov_b64 s[6:7], -1
	s_branch .LBB18_123
.LBB18_12:
	s_mov_b64 s[4:5], 0
	s_mov_b64 s[6:7], 0
	s_cbranch_execnz .LBB18_43
	s_branch .LBB18_83
.LBB18_13:
	s_mov_b64 s[8:9], -1
	s_mov_b64 s[4:5], 0
	s_mov_b64 s[6:7], 0
	s_branch .LBB18_26
.LBB18_14:
	s_mov_b64 s[8:9], -1
	s_mov_b64 s[4:5], 0
	s_mov_b64 s[6:7], 0
	s_branch .LBB18_22
.LBB18_15:
	s_mov_b64 s[8:9], -1
	s_mov_b64 s[4:5], 0
	s_mov_b64 s[6:7], 0
.LBB18_16:
	s_and_b64 vcc, exec, s[8:9]
	s_cbranch_vccz .LBB18_21
; %bb.17:
	s_cmp_eq_u32 s13, 44
	s_mov_b64 s[4:5], -1
	s_cbranch_scc0 .LBB18_21
; %bb.18:
	v_bfe_u32 v1, v0, 23, 8
	s_movk_i32 s4, 0xff
	v_cmp_ne_u32_e32 vcc, s4, v1
	v_mov_b32_e32 v4, 0xff
	s_and_saveexec_b64 s[6:7], vcc
; %bb.19:
	s_mov_b32 s4, 0x3fffff
	v_and_b32_e32 v5, 0x400000, v0
	v_and_or_b32 v1, v0, s4, v1
	v_cmp_ne_u32_e32 vcc, 0, v5
	v_cmp_ne_u32_e64 s[4:5], 0, v1
	s_and_b64 s[4:5], vcc, s[4:5]
	v_lshrrev_b32_e32 v4, 23, v0
	v_cndmask_b32_e64 v1, 0, 1, s[4:5]
	v_add_u32_e32 v4, v4, v1
; %bb.20:
	s_or_b64 exec, exec, s[6:7]
	s_mov_b64 s[6:7], -1
	s_mov_b64 s[4:5], 0
	global_store_byte v[2:3], v4, off
.LBB18_21:
	s_mov_b64 s[8:9], 0
.LBB18_22:
	s_and_b64 vcc, exec, s[8:9]
	s_cbranch_vccz .LBB18_25
; %bb.23:
	s_cmp_eq_u32 s13, 29
	s_mov_b64 s[4:5], -1
	s_cbranch_scc0 .LBB18_25
; %bb.24:
	v_trunc_f32_e32 v1, v0
	v_mul_f32_e32 v4, 0x2f800000, v1
	v_floor_f32_e32 v4, v4
	v_fmac_f32_e32 v1, 0xcf800000, v4
	v_cvt_u32_f32_e32 v5, v4
	v_cvt_u32_f32_e32 v4, v1
	s_mov_b64 s[6:7], -1
	s_mov_b64 s[4:5], 0
	s_mov_b64 s[8:9], 0
	global_store_dwordx2 v[2:3], v[4:5], off
	s_branch .LBB18_26
.LBB18_25:
	s_mov_b64 s[8:9], 0
.LBB18_26:
	s_and_b64 vcc, exec, s[8:9]
	s_cbranch_vccz .LBB18_42
; %bb.27:
	s_cmp_lt_i32 s13, 27
	s_mov_b64 s[6:7], -1
	s_cbranch_scc1 .LBB18_33
; %bb.28:
	v_cvt_u32_f32_e32 v1, v0
	s_cmp_gt_i32 s13, 27
	s_cbranch_scc0 .LBB18_30
; %bb.29:
	s_mov_b64 s[6:7], 0
	global_store_dword v[2:3], v1, off
.LBB18_30:
	s_andn2_b64 vcc, exec, s[6:7]
	s_cbranch_vccnz .LBB18_32
; %bb.31:
	global_store_short v[2:3], v1, off
.LBB18_32:
	s_mov_b64 s[6:7], 0
.LBB18_33:
	s_andn2_b64 vcc, exec, s[6:7]
	s_cbranch_vccnz .LBB18_41
; %bb.34:
	v_and_b32_e32 v1, 0x7fffffff, v0
	s_mov_b32 s6, 0x43800000
	v_cmp_gt_u32_e32 vcc, s6, v1
	v_mov_b32_e32 v4, 0x80
	s_and_saveexec_b64 s[6:7], vcc
	s_cbranch_execz .LBB18_40
; %bb.35:
	s_mov_b32 s8, 0x3bffffff
	v_cmp_lt_u32_e32 vcc, s8, v1
	s_mov_b64 s[8:9], 0
                                        ; implicit-def: $vgpr1
	s_and_saveexec_b64 s[10:11], vcc
	s_xor_b64 s[10:11], exec, s[10:11]
	s_cbranch_execz .LBB18_141
; %bb.36:
	v_bfe_u32 v1, v0, 20, 1
	s_mov_b32 s14, 0x487ffff
	v_add3_u32 v1, v0, v1, s14
	s_mov_b64 s[8:9], exec
	v_lshrrev_b32_e32 v1, 20, v1
	s_andn2_saveexec_b64 s[10:11], s[10:11]
	s_cbranch_execnz .LBB18_142
.LBB18_37:
	s_or_b64 exec, exec, s[10:11]
	v_mov_b32_e32 v4, 0
	s_and_saveexec_b64 s[10:11], s[8:9]
.LBB18_38:
	v_lshrrev_b32_e32 v4, 24, v0
	s_movk_i32 s8, 0x80
	v_and_or_b32 v4, v4, s8, v1
.LBB18_39:
	s_or_b64 exec, exec, s[10:11]
.LBB18_40:
	s_or_b64 exec, exec, s[6:7]
	global_store_byte v[2:3], v4, off
.LBB18_41:
	s_mov_b64 s[6:7], -1
.LBB18_42:
	s_branch .LBB18_83
.LBB18_43:
	s_cmp_gt_i32 s13, 22
	s_mov_b64 s[8:9], -1
	s_cbranch_scc0 .LBB18_75
; %bb.44:
	s_cmp_lt_i32 s13, 24
	s_mov_b64 s[6:7], -1
	s_cbranch_scc1 .LBB18_64
; %bb.45:
	s_cmp_gt_i32 s13, 24
	s_cbranch_scc0 .LBB18_53
; %bb.46:
	v_and_b32_e32 v1, 0x7fffffff, v0
	s_mov_b32 s6, 0x47800000
	v_cmp_gt_u32_e32 vcc, s6, v1
	v_mov_b32_e32 v4, 0x80
	s_and_saveexec_b64 s[6:7], vcc
	s_cbranch_execz .LBB18_52
; %bb.47:
	s_mov_b32 s8, 0x37ffffff
	v_cmp_lt_u32_e32 vcc, s8, v1
	s_mov_b64 s[8:9], 0
                                        ; implicit-def: $vgpr1
	s_and_saveexec_b64 s[10:11], vcc
	s_xor_b64 s[10:11], exec, s[10:11]
	s_cbranch_execz .LBB18_144
; %bb.48:
	v_bfe_u32 v1, v0, 21, 1
	s_mov_b32 s14, 0x88fffff
	v_add3_u32 v1, v0, v1, s14
	s_mov_b64 s[8:9], exec
	v_lshrrev_b32_e32 v1, 21, v1
	s_andn2_saveexec_b64 s[10:11], s[10:11]
	s_cbranch_execnz .LBB18_145
.LBB18_49:
	s_or_b64 exec, exec, s[10:11]
	v_mov_b32_e32 v4, 0
	s_and_saveexec_b64 s[10:11], s[8:9]
.LBB18_50:
	v_lshrrev_b32_e32 v4, 24, v0
	s_movk_i32 s8, 0x80
	v_and_or_b32 v4, v4, s8, v1
.LBB18_51:
	s_or_b64 exec, exec, s[10:11]
.LBB18_52:
	s_or_b64 exec, exec, s[6:7]
	s_mov_b64 s[6:7], 0
	global_store_byte v[2:3], v4, off
.LBB18_53:
	s_and_b64 vcc, exec, s[6:7]
	s_cbranch_vccz .LBB18_63
; %bb.54:
	v_and_b32_e32 v4, 0x7fffffff, v0
	s_mov_b32 s6, 0x43f00000
	v_cmp_gt_u32_e32 vcc, s6, v4
                                        ; implicit-def: $vgpr1
	s_and_saveexec_b64 s[6:7], vcc
	s_xor_b64 s[6:7], exec, s[6:7]
	s_cbranch_execz .LBB18_60
; %bb.55:
	s_mov_b32 s8, 0x3c7fffff
	v_cmp_lt_u32_e32 vcc, s8, v4
                                        ; implicit-def: $vgpr1
	s_and_saveexec_b64 s[8:9], vcc
	s_xor_b64 s[8:9], exec, s[8:9]
; %bb.56:
	v_bfe_u32 v1, v0, 20, 1
	s_mov_b32 s10, 0x407ffff
	v_add3_u32 v1, v0, v1, s10
	v_lshrrev_b32_e32 v4, 20, v1
	v_and_b32_e32 v1, 0xff00000, v1
	s_mov_b32 s10, 0x7f00000
	v_mov_b32_e32 v5, 0x7e
	v_cmp_ne_u32_e32 vcc, s10, v1
	v_cndmask_b32_e32 v1, v5, v4, vcc
; %bb.57:
	s_andn2_saveexec_b64 s[8:9], s[8:9]
; %bb.58:
	s_mov_b32 s10, 0x46800000
	v_add_f32_e64 v1, |v0|, s10
; %bb.59:
	s_or_b64 exec, exec, s[8:9]
                                        ; implicit-def: $vgpr4
.LBB18_60:
	s_andn2_saveexec_b64 s[6:7], s[6:7]
; %bb.61:
	s_mov_b32 s8, 0x7f800000
	v_mov_b32_e32 v1, 0x7e
	v_mov_b32_e32 v5, 0x7f
	v_cmp_lt_u32_e32 vcc, s8, v4
	v_cndmask_b32_e32 v1, v1, v5, vcc
; %bb.62:
	s_or_b64 exec, exec, s[6:7]
	v_lshrrev_b32_e32 v4, 24, v0
	s_movk_i32 s6, 0x80
	v_and_or_b32 v1, v4, s6, v1
	global_store_byte v[2:3], v1, off
.LBB18_63:
	s_mov_b64 s[6:7], 0
.LBB18_64:
	s_andn2_b64 vcc, exec, s[6:7]
	s_cbranch_vccnz .LBB18_74
; %bb.65:
	v_and_b32_e32 v4, 0x7fffffff, v0
	s_mov_b32 s6, 0x47800000
	v_cmp_gt_u32_e32 vcc, s6, v4
                                        ; implicit-def: $vgpr1
	s_and_saveexec_b64 s[6:7], vcc
	s_xor_b64 s[6:7], exec, s[6:7]
	s_cbranch_execz .LBB18_71
; %bb.66:
	s_mov_b32 s8, 0x387fffff
	v_cmp_lt_u32_e32 vcc, s8, v4
                                        ; implicit-def: $vgpr1
	s_and_saveexec_b64 s[8:9], vcc
	s_xor_b64 s[8:9], exec, s[8:9]
; %bb.67:
	v_bfe_u32 v1, v0, 21, 1
	s_mov_b32 s10, 0x80fffff
	v_add3_u32 v1, v0, v1, s10
	v_lshrrev_b32_e32 v1, 21, v1
; %bb.68:
	s_andn2_saveexec_b64 s[8:9], s[8:9]
; %bb.69:
	s_mov_b32 s10, 0x43000000
	v_add_f32_e64 v1, |v0|, s10
; %bb.70:
	s_or_b64 exec, exec, s[8:9]
                                        ; implicit-def: $vgpr4
.LBB18_71:
	s_andn2_saveexec_b64 s[6:7], s[6:7]
; %bb.72:
	s_mov_b32 s8, 0x7f800000
	v_mov_b32_e32 v1, 0x7c
	v_mov_b32_e32 v5, 0x7f
	v_cmp_lt_u32_e32 vcc, s8, v4
	v_cndmask_b32_e32 v1, v1, v5, vcc
; %bb.73:
	s_or_b64 exec, exec, s[6:7]
	v_lshrrev_b32_e32 v4, 24, v0
	s_movk_i32 s6, 0x80
	v_and_or_b32 v1, v4, s6, v1
	global_store_byte v[2:3], v1, off
.LBB18_74:
	s_mov_b64 s[8:9], 0
	s_mov_b64 s[6:7], -1
.LBB18_75:
	s_andn2_b64 vcc, exec, s[8:9]
	s_cbranch_vccnz .LBB18_83
; %bb.76:
	s_cmp_gt_i32 s13, 14
	s_mov_b64 s[8:9], -1
	s_cbranch_scc0 .LBB18_80
; %bb.77:
	s_cmp_eq_u32 s13, 15
	s_mov_b64 s[4:5], -1
	s_cbranch_scc0 .LBB18_79
; %bb.78:
	v_bfe_u32 v1, v0, 16, 1
	s_movk_i32 s4, 0x7fff
	v_add3_u32 v1, v0, v1, s4
	v_cmp_o_f32_e32 vcc, v0, v0
	v_mov_b32_e32 v4, 0x7fc0
	v_cndmask_b32_sdwa v1, v4, v1, vcc dst_sel:DWORD dst_unused:UNUSED_PAD src0_sel:DWORD src1_sel:WORD_1
	global_store_short v[2:3], v1, off
	s_mov_b64 s[6:7], -1
	s_mov_b64 s[4:5], 0
.LBB18_79:
	s_mov_b64 s[8:9], 0
.LBB18_80:
	s_and_b64 vcc, exec, s[8:9]
	s_cbranch_vccz .LBB18_83
; %bb.81:
	s_cmp_eq_u32 s13, 11
	s_mov_b64 s[4:5], -1
	s_cbranch_scc0 .LBB18_83
; %bb.82:
	v_cmp_neq_f32_e32 vcc, 0, v0
	v_cndmask_b32_e64 v1, 0, 1, vcc
	s_mov_b64 s[6:7], -1
	s_mov_b64 s[4:5], 0
	global_store_byte v[2:3], v1, off
.LBB18_83:
	s_branch .LBB18_10
.LBB18_84:
	s_and_b32 s8, 0xffff, s12
	s_cmp_lt_i32 s8, 5
	s_mov_b64 s[6:7], -1
	s_cbranch_scc1 .LBB18_105
; %bb.85:
	s_cmp_lt_i32 s8, 8
	s_cbranch_scc1 .LBB18_95
; %bb.86:
	s_cmp_lt_i32 s8, 9
	s_cbranch_scc1 .LBB18_92
; %bb.87:
	s_cmp_gt_i32 s8, 9
	s_cbranch_scc0 .LBB18_89
; %bb.88:
	v_cvt_f64_f32_e32 v[4:5], v0
	v_mov_b32_e32 v6, 0
	v_mov_b32_e32 v7, v6
	s_mov_b64 s[6:7], 0
	global_store_dwordx4 v[2:3], v[4:7], off
.LBB18_89:
	s_andn2_b64 vcc, exec, s[6:7]
	s_cbranch_vccnz .LBB18_91
; %bb.90:
	v_mov_b32_e32 v1, 0
	global_store_dwordx2 v[2:3], v[0:1], off
.LBB18_91:
	s_mov_b64 s[6:7], 0
.LBB18_92:
	s_andn2_b64 vcc, exec, s[6:7]
	s_cbranch_vccnz .LBB18_94
; %bb.93:
	v_cvt_f16_f32_e32 v1, v0
	global_store_dword v[2:3], v1, off
.LBB18_94:
	s_mov_b64 s[6:7], 0
.LBB18_95:
	s_andn2_b64 vcc, exec, s[6:7]
	s_cbranch_vccnz .LBB18_104
; %bb.96:
	s_cmp_lt_i32 s8, 6
	s_mov_b64 s[6:7], -1
	s_cbranch_scc1 .LBB18_102
; %bb.97:
	s_cmp_gt_i32 s8, 6
	s_cbranch_scc0 .LBB18_99
; %bb.98:
	v_cvt_f64_f32_e32 v[4:5], v0
	s_mov_b64 s[6:7], 0
	global_store_dwordx2 v[2:3], v[4:5], off
.LBB18_99:
	s_andn2_b64 vcc, exec, s[6:7]
	s_cbranch_vccnz .LBB18_101
; %bb.100:
	global_store_dword v[2:3], v0, off
.LBB18_101:
	s_mov_b64 s[6:7], 0
.LBB18_102:
	s_andn2_b64 vcc, exec, s[6:7]
	s_cbranch_vccnz .LBB18_104
; %bb.103:
	v_cvt_f16_f32_e32 v1, v0
	global_store_short v[2:3], v1, off
.LBB18_104:
	s_mov_b64 s[6:7], 0
.LBB18_105:
	s_andn2_b64 vcc, exec, s[6:7]
	s_cbranch_vccnz .LBB18_121
; %bb.106:
	s_cmp_lt_i32 s8, 2
	s_mov_b64 s[6:7], -1
	s_cbranch_scc1 .LBB18_116
; %bb.107:
	s_cmp_lt_i32 s8, 3
	s_cbranch_scc1 .LBB18_113
; %bb.108:
	s_cmp_gt_i32 s8, 3
	s_cbranch_scc0 .LBB18_110
; %bb.109:
	v_trunc_f32_e32 v1, v0
	s_mov_b32 s6, 0x2f800000
	v_mul_f32_e64 v4, |v1|, s6
	v_floor_f32_e32 v4, v4
	s_mov_b32 s6, 0xcf800000
	v_cvt_u32_f32_e32 v5, v4
	v_fma_f32 v4, v4, s6, |v1|
	v_cvt_u32_f32_e32 v4, v4
	v_ashrrev_i32_e32 v1, 31, v1
	v_xor_b32_e32 v5, v5, v1
	s_mov_b64 s[6:7], 0
	v_xor_b32_e32 v4, v4, v1
	v_sub_co_u32_e32 v4, vcc, v4, v1
	v_subb_co_u32_e32 v5, vcc, v5, v1, vcc
	global_store_dwordx2 v[2:3], v[4:5], off
.LBB18_110:
	s_andn2_b64 vcc, exec, s[6:7]
	s_cbranch_vccnz .LBB18_112
; %bb.111:
	v_cvt_i32_f32_e32 v1, v0
	global_store_dword v[2:3], v1, off
.LBB18_112:
	s_mov_b64 s[6:7], 0
.LBB18_113:
	s_andn2_b64 vcc, exec, s[6:7]
	s_cbranch_vccnz .LBB18_115
; %bb.114:
	v_cvt_i32_f32_e32 v1, v0
	global_store_short v[2:3], v1, off
.LBB18_115:
	s_mov_b64 s[6:7], 0
.LBB18_116:
	s_andn2_b64 vcc, exec, s[6:7]
	s_cbranch_vccnz .LBB18_121
; %bb.117:
	s_cmp_gt_i32 s8, 0
	s_mov_b64 s[6:7], -1
	s_cbranch_scc0 .LBB18_119
; %bb.118:
	v_cvt_i32_f32_e32 v1, v0
	s_mov_b64 s[6:7], 0
	global_store_byte v[2:3], v1, off
.LBB18_119:
	s_andn2_b64 vcc, exec, s[6:7]
	s_cbranch_vccnz .LBB18_121
; %bb.120:
	v_trunc_f32_e32 v0, v0
	s_mov_b32 s6, 0x2f800000
	v_mul_f32_e64 v1, |v0|, s6
	v_floor_f32_e32 v1, v1
	s_mov_b32 s6, 0xcf800000
	v_fma_f32 v1, v1, s6, |v0|
	v_cvt_u32_f32_e32 v1, v1
	v_ashrrev_i32_e32 v0, 31, v0
	v_xor_b32_e32 v1, v1, v0
	v_sub_u32_e32 v0, v1, v0
	global_store_byte v[2:3], v0, off
.LBB18_121:
	s_branch .LBB18_11
.LBB18_122:
	s_mov_b64 s[6:7], 0
                                        ; implicit-def: $vgpr23
.LBB18_123:
	s_and_b64 s[42:43], s[4:5], exec
	s_orn2_b64 s[4:5], s[6:7], exec
.LBB18_124:
	s_or_b64 exec, exec, s[44:45]
	s_mov_b64 s[6:7], 0
                                        ; implicit-def: $sgpr14
                                        ; implicit-def: $vgpr2_vgpr3
                                        ; implicit-def: $vgpr0
	s_and_saveexec_b64 s[44:45], s[4:5]
	s_cbranch_execz .LBB18_133
; %bb.125:
	v_cmp_gt_i32_e32 vcc, s54, v23
	s_mov_b64 s[8:9], -1
	s_mov_b64 s[46:47], s[42:43]
	s_and_saveexec_b64 s[48:49], vcc
	s_cbranch_execz .LBB18_256
; %bb.126:
	s_getpc_b64 s[4:5]
	s_add_u32 s4, s4, _ZN2at6native6invokeIZZZNS0_12_GLOBAL__N_121bessel_j1_kernel_cudaERNS_18TensorIteratorBaseEENKUlvE_clEvENKUlvE0_clEvEUlfE_i15function_traitsIS7_EEENT1_11result_typeERKT_PrKPcPKT0_PKN3c1010ScalarTypeEi@rel32@lo+4
	s_addc_u32 s5, s5, _ZN2at6native6invokeIZZZNS0_12_GLOBAL__N_121bessel_j1_kernel_cudaERNS_18TensorIteratorBaseEENKUlvE_clEvENKUlvE0_clEvEUlfE_i15function_traitsIS7_EEENT1_11result_typeERKT_PrKPcPKT0_PKN3c1010ScalarTypeEi@rel32@hi+12
	v_mov_b32_e32 v0, s38
	v_mov_b32_e32 v1, s39
	;; [unrolled: 1-line block ×5, first 2 shown]
	s_swappc_b64 s[30:31], s[4:5]
	v_mul_lo_u32 v1, v23, s28
	v_mov_b32_e32 v3, s37
	s_and_b32 s12, s33, 0xff
	s_cmp_lt_i32 s12, 11
	v_ashrrev_i32_e32 v4, 31, v1
	v_add_co_u32_e32 v2, vcc, s36, v1
	v_addc_co_u32_e32 v3, vcc, v3, v4, vcc
	s_cbranch_scc1 .LBB18_136
; %bb.127:
	s_and_b32 s13, 0xffff, s12
	s_cmp_gt_i32 s13, 25
	s_cbranch_scc0 .LBB18_139
; %bb.128:
	s_cmp_gt_i32 s13, 28
	s_cbranch_scc0 .LBB18_140
; %bb.129:
	s_cmp_gt_i32 s13, 43
	s_cbranch_scc0 .LBB18_143
; %bb.130:
	s_cmp_gt_i32 s13, 45
	s_cbranch_scc0 .LBB18_146
; %bb.131:
	s_mov_b64 s[8:9], 0
	s_mov_b64 s[4:5], -1
	s_cmp_eq_u32 s13, 46
	s_mov_b64 s[6:7], 0
	s_cbranch_scc0 .LBB18_147
; %bb.132:
	v_bfe_u32 v1, v0, 16, 1
	s_movk_i32 s4, 0x7fff
	v_add3_u32 v1, v0, v1, s4
	v_cmp_o_f32_e32 vcc, v0, v0
	v_mov_b32_e32 v4, 0x7fc0
	v_cndmask_b32_sdwa v1, v4, v1, vcc dst_sel:DWORD dst_unused:UNUSED_PAD src0_sel:DWORD src1_sel:WORD_1
	global_store_dword v[2:3], v1, off
	s_mov_b64 s[6:7], -1
	s_mov_b64 s[4:5], 0
	s_branch .LBB18_147
.LBB18_133:
	s_or_b64 exec, exec, s[44:45]
	s_mov_b64 s[4:5], 0
	s_and_saveexec_b64 s[8:9], s[42:43]
	s_cbranch_execnz .LBB18_468
.LBB18_134:
	s_or_b64 exec, exec, s[8:9]
	s_and_saveexec_b64 s[8:9], s[48:49]
	s_xor_b64 s[8:9], exec, s[8:9]
	s_cbranch_execz .LBB18_469
.LBB18_135:
	v_cmp_neq_f32_e32 vcc, 0, v0
	v_cndmask_b32_e64 v1, 0, 1, vcc
	global_store_byte v[2:3], v1, off
	s_or_b64 exec, exec, s[8:9]
	s_and_saveexec_b64 s[8:9], s[6:7]
	s_xor_b64 s[6:7], exec, s[8:9]
	s_cbranch_execz .LBB18_507
	s_branch .LBB18_470
.LBB18_136:
	s_mov_b64 s[6:7], 0
	s_mov_b64 s[4:5], s[42:43]
	s_cbranch_execnz .LBB18_216
.LBB18_137:
	s_andn2_b64 vcc, exec, s[6:7]
	s_cbranch_vccnz .LBB18_254
.LBB18_138:
	v_add_u32_e32 v23, 0x80, v23
	s_mov_b64 s[6:7], -1
	s_branch .LBB18_255
.LBB18_139:
	s_mov_b64 s[8:9], -1
	s_mov_b64 s[6:7], 0
	s_mov_b64 s[4:5], s[42:43]
	s_branch .LBB18_174
.LBB18_140:
	s_mov_b64 s[8:9], -1
	s_mov_b64 s[6:7], 0
	s_mov_b64 s[4:5], s[42:43]
	s_branch .LBB18_157
.LBB18_141:
	s_andn2_saveexec_b64 s[10:11], s[10:11]
	s_cbranch_execz .LBB18_37
.LBB18_142:
	s_mov_b32 s14, 0x46000000
	v_add_f32_e64 v1, |v0|, s14
	v_and_b32_e32 v1, 0xff, v1
	v_cmp_ne_u32_e32 vcc, 0, v1
	s_andn2_b64 s[8:9], s[8:9], exec
	s_and_b64 s[14:15], vcc, exec
	s_or_b64 s[8:9], s[8:9], s[14:15]
	s_or_b64 exec, exec, s[10:11]
	v_mov_b32_e32 v4, 0
	s_and_saveexec_b64 s[10:11], s[8:9]
	s_cbranch_execnz .LBB18_38
	s_branch .LBB18_39
.LBB18_143:
	s_mov_b64 s[8:9], -1
	s_mov_b64 s[6:7], 0
	s_mov_b64 s[4:5], s[42:43]
	s_branch .LBB18_153
.LBB18_144:
	s_andn2_saveexec_b64 s[10:11], s[10:11]
	s_cbranch_execz .LBB18_49
.LBB18_145:
	s_mov_b32 s14, 0x42800000
	v_add_f32_e64 v1, |v0|, s14
	v_and_b32_e32 v1, 0xff, v1
	v_cmp_ne_u32_e32 vcc, 0, v1
	s_andn2_b64 s[8:9], s[8:9], exec
	s_and_b64 s[14:15], vcc, exec
	s_or_b64 s[8:9], s[8:9], s[14:15]
	s_or_b64 exec, exec, s[10:11]
	v_mov_b32_e32 v4, 0
	s_and_saveexec_b64 s[10:11], s[8:9]
	s_cbranch_execnz .LBB18_50
	s_branch .LBB18_51
.LBB18_146:
	s_mov_b64 s[8:9], -1
	s_mov_b64 s[6:7], 0
	s_mov_b64 s[4:5], s[42:43]
.LBB18_147:
	s_and_b64 vcc, exec, s[8:9]
	s_cbranch_vccz .LBB18_152
; %bb.148:
	s_cmp_eq_u32 s13, 44
	s_mov_b64 s[4:5], -1
	s_cbranch_scc0 .LBB18_152
; %bb.149:
	v_bfe_u32 v1, v0, 23, 8
	s_movk_i32 s4, 0xff
	v_cmp_ne_u32_e32 vcc, s4, v1
	v_mov_b32_e32 v4, 0xff
	s_and_saveexec_b64 s[6:7], vcc
; %bb.150:
	s_mov_b32 s4, 0x3fffff
	v_and_b32_e32 v5, 0x400000, v0
	v_and_or_b32 v1, v0, s4, v1
	v_cmp_ne_u32_e32 vcc, 0, v5
	v_cmp_ne_u32_e64 s[4:5], 0, v1
	s_and_b64 s[4:5], vcc, s[4:5]
	v_lshrrev_b32_e32 v4, 23, v0
	v_cndmask_b32_e64 v1, 0, 1, s[4:5]
	v_add_u32_e32 v4, v4, v1
; %bb.151:
	s_or_b64 exec, exec, s[6:7]
	s_mov_b64 s[6:7], -1
	s_mov_b64 s[4:5], 0
	global_store_byte v[2:3], v4, off
.LBB18_152:
	s_mov_b64 s[8:9], 0
.LBB18_153:
	s_and_b64 vcc, exec, s[8:9]
	s_cbranch_vccz .LBB18_156
; %bb.154:
	s_cmp_eq_u32 s13, 29
	s_mov_b64 s[4:5], -1
	s_cbranch_scc0 .LBB18_156
; %bb.155:
	v_trunc_f32_e32 v1, v0
	v_mul_f32_e32 v4, 0x2f800000, v1
	v_floor_f32_e32 v4, v4
	v_fmac_f32_e32 v1, 0xcf800000, v4
	v_cvt_u32_f32_e32 v5, v4
	v_cvt_u32_f32_e32 v4, v1
	s_mov_b64 s[6:7], -1
	s_mov_b64 s[4:5], 0
	s_mov_b64 s[8:9], 0
	global_store_dwordx2 v[2:3], v[4:5], off
	s_branch .LBB18_157
.LBB18_156:
	s_mov_b64 s[8:9], 0
.LBB18_157:
	s_and_b64 vcc, exec, s[8:9]
	s_cbranch_vccz .LBB18_173
; %bb.158:
	s_cmp_lt_i32 s13, 27
	s_mov_b64 s[6:7], -1
	s_cbranch_scc1 .LBB18_164
; %bb.159:
	v_cvt_u32_f32_e32 v1, v0
	s_cmp_gt_i32 s13, 27
	s_cbranch_scc0 .LBB18_161
; %bb.160:
	s_mov_b64 s[6:7], 0
	global_store_dword v[2:3], v1, off
.LBB18_161:
	s_andn2_b64 vcc, exec, s[6:7]
	s_cbranch_vccnz .LBB18_163
; %bb.162:
	global_store_short v[2:3], v1, off
.LBB18_163:
	s_mov_b64 s[6:7], 0
.LBB18_164:
	s_andn2_b64 vcc, exec, s[6:7]
	s_cbranch_vccnz .LBB18_172
; %bb.165:
	v_and_b32_e32 v1, 0x7fffffff, v0
	s_mov_b32 s6, 0x43800000
	v_cmp_gt_u32_e32 vcc, s6, v1
	v_mov_b32_e32 v4, 0x80
	s_and_saveexec_b64 s[6:7], vcc
	s_cbranch_execz .LBB18_171
; %bb.166:
	s_mov_b32 s8, 0x3bffffff
	v_cmp_lt_u32_e32 vcc, s8, v1
	s_mov_b64 s[8:9], 0
                                        ; implicit-def: $vgpr1
	s_and_saveexec_b64 s[10:11], vcc
	s_xor_b64 s[10:11], exec, s[10:11]
	s_cbranch_execz .LBB18_268
; %bb.167:
	v_bfe_u32 v1, v0, 20, 1
	s_mov_b32 s14, 0x487ffff
	v_add3_u32 v1, v0, v1, s14
	s_mov_b64 s[8:9], exec
	v_lshrrev_b32_e32 v1, 20, v1
	s_andn2_saveexec_b64 s[10:11], s[10:11]
	s_cbranch_execnz .LBB18_269
.LBB18_168:
	s_or_b64 exec, exec, s[10:11]
	v_mov_b32_e32 v4, 0
	s_and_saveexec_b64 s[10:11], s[8:9]
.LBB18_169:
	v_lshrrev_b32_e32 v4, 24, v0
	s_movk_i32 s8, 0x80
	v_and_or_b32 v4, v4, s8, v1
.LBB18_170:
	s_or_b64 exec, exec, s[10:11]
.LBB18_171:
	s_or_b64 exec, exec, s[6:7]
	global_store_byte v[2:3], v4, off
.LBB18_172:
	s_mov_b64 s[6:7], -1
.LBB18_173:
	s_mov_b64 s[8:9], 0
.LBB18_174:
	s_and_b64 vcc, exec, s[8:9]
	s_cbranch_vccz .LBB18_215
; %bb.175:
	s_cmp_gt_i32 s13, 22
	s_mov_b64 s[8:9], -1
	s_cbranch_scc0 .LBB18_207
; %bb.176:
	s_cmp_lt_i32 s13, 24
	s_mov_b64 s[6:7], -1
	s_cbranch_scc1 .LBB18_196
; %bb.177:
	s_cmp_gt_i32 s13, 24
	s_cbranch_scc0 .LBB18_185
; %bb.178:
	v_and_b32_e32 v1, 0x7fffffff, v0
	s_mov_b32 s6, 0x47800000
	v_cmp_gt_u32_e32 vcc, s6, v1
	v_mov_b32_e32 v4, 0x80
	s_and_saveexec_b64 s[6:7], vcc
	s_cbranch_execz .LBB18_184
; %bb.179:
	s_mov_b32 s8, 0x37ffffff
	v_cmp_lt_u32_e32 vcc, s8, v1
	s_mov_b64 s[8:9], 0
                                        ; implicit-def: $vgpr1
	s_and_saveexec_b64 s[10:11], vcc
	s_xor_b64 s[10:11], exec, s[10:11]
	s_cbranch_execz .LBB18_271
; %bb.180:
	v_bfe_u32 v1, v0, 21, 1
	s_mov_b32 s14, 0x88fffff
	v_add3_u32 v1, v0, v1, s14
	s_mov_b64 s[8:9], exec
	v_lshrrev_b32_e32 v1, 21, v1
	s_andn2_saveexec_b64 s[10:11], s[10:11]
	s_cbranch_execnz .LBB18_272
.LBB18_181:
	s_or_b64 exec, exec, s[10:11]
	v_mov_b32_e32 v4, 0
	s_and_saveexec_b64 s[10:11], s[8:9]
.LBB18_182:
	v_lshrrev_b32_e32 v4, 24, v0
	s_movk_i32 s8, 0x80
	v_and_or_b32 v4, v4, s8, v1
.LBB18_183:
	s_or_b64 exec, exec, s[10:11]
.LBB18_184:
	s_or_b64 exec, exec, s[6:7]
	s_mov_b64 s[6:7], 0
	global_store_byte v[2:3], v4, off
.LBB18_185:
	s_and_b64 vcc, exec, s[6:7]
	s_cbranch_vccz .LBB18_195
; %bb.186:
	v_and_b32_e32 v4, 0x7fffffff, v0
	s_mov_b32 s6, 0x43f00000
	v_cmp_gt_u32_e32 vcc, s6, v4
                                        ; implicit-def: $vgpr1
	s_and_saveexec_b64 s[6:7], vcc
	s_xor_b64 s[6:7], exec, s[6:7]
	s_cbranch_execz .LBB18_192
; %bb.187:
	s_mov_b32 s8, 0x3c7fffff
	v_cmp_lt_u32_e32 vcc, s8, v4
                                        ; implicit-def: $vgpr1
	s_and_saveexec_b64 s[8:9], vcc
	s_xor_b64 s[8:9], exec, s[8:9]
; %bb.188:
	v_bfe_u32 v1, v0, 20, 1
	s_mov_b32 s10, 0x407ffff
	v_add3_u32 v1, v0, v1, s10
	v_lshrrev_b32_e32 v4, 20, v1
	v_and_b32_e32 v1, 0xff00000, v1
	s_mov_b32 s10, 0x7f00000
	v_mov_b32_e32 v5, 0x7e
	v_cmp_ne_u32_e32 vcc, s10, v1
	v_cndmask_b32_e32 v1, v5, v4, vcc
; %bb.189:
	s_andn2_saveexec_b64 s[8:9], s[8:9]
; %bb.190:
	s_mov_b32 s10, 0x46800000
	v_add_f32_e64 v1, |v0|, s10
; %bb.191:
	s_or_b64 exec, exec, s[8:9]
                                        ; implicit-def: $vgpr4
.LBB18_192:
	s_andn2_saveexec_b64 s[6:7], s[6:7]
; %bb.193:
	s_mov_b32 s8, 0x7f800000
	v_mov_b32_e32 v1, 0x7e
	v_mov_b32_e32 v5, 0x7f
	v_cmp_lt_u32_e32 vcc, s8, v4
	v_cndmask_b32_e32 v1, v1, v5, vcc
; %bb.194:
	s_or_b64 exec, exec, s[6:7]
	v_lshrrev_b32_e32 v4, 24, v0
	s_movk_i32 s6, 0x80
	v_and_or_b32 v1, v4, s6, v1
	global_store_byte v[2:3], v1, off
.LBB18_195:
	s_mov_b64 s[6:7], 0
.LBB18_196:
	s_andn2_b64 vcc, exec, s[6:7]
	s_cbranch_vccnz .LBB18_206
; %bb.197:
	v_and_b32_e32 v4, 0x7fffffff, v0
	s_mov_b32 s6, 0x47800000
	v_cmp_gt_u32_e32 vcc, s6, v4
                                        ; implicit-def: $vgpr1
	s_and_saveexec_b64 s[6:7], vcc
	s_xor_b64 s[6:7], exec, s[6:7]
	s_cbranch_execz .LBB18_203
; %bb.198:
	s_mov_b32 s8, 0x387fffff
	v_cmp_lt_u32_e32 vcc, s8, v4
                                        ; implicit-def: $vgpr1
	s_and_saveexec_b64 s[8:9], vcc
	s_xor_b64 s[8:9], exec, s[8:9]
; %bb.199:
	v_bfe_u32 v1, v0, 21, 1
	s_mov_b32 s10, 0x80fffff
	v_add3_u32 v1, v0, v1, s10
	v_lshrrev_b32_e32 v1, 21, v1
; %bb.200:
	s_andn2_saveexec_b64 s[8:9], s[8:9]
; %bb.201:
	s_mov_b32 s10, 0x43000000
	v_add_f32_e64 v1, |v0|, s10
; %bb.202:
	s_or_b64 exec, exec, s[8:9]
                                        ; implicit-def: $vgpr4
.LBB18_203:
	s_andn2_saveexec_b64 s[6:7], s[6:7]
; %bb.204:
	s_mov_b32 s8, 0x7f800000
	v_mov_b32_e32 v1, 0x7c
	v_mov_b32_e32 v5, 0x7f
	v_cmp_lt_u32_e32 vcc, s8, v4
	v_cndmask_b32_e32 v1, v1, v5, vcc
; %bb.205:
	s_or_b64 exec, exec, s[6:7]
	v_lshrrev_b32_e32 v4, 24, v0
	s_movk_i32 s6, 0x80
	v_and_or_b32 v1, v4, s6, v1
	global_store_byte v[2:3], v1, off
.LBB18_206:
	s_mov_b64 s[8:9], 0
	s_mov_b64 s[6:7], -1
.LBB18_207:
	s_andn2_b64 vcc, exec, s[8:9]
	s_cbranch_vccnz .LBB18_215
; %bb.208:
	s_cmp_gt_i32 s13, 14
	s_mov_b64 s[8:9], -1
	s_cbranch_scc0 .LBB18_212
; %bb.209:
	s_cmp_eq_u32 s13, 15
	s_mov_b64 s[4:5], -1
	s_cbranch_scc0 .LBB18_211
; %bb.210:
	v_bfe_u32 v1, v0, 16, 1
	s_movk_i32 s4, 0x7fff
	v_add3_u32 v1, v0, v1, s4
	v_cmp_o_f32_e32 vcc, v0, v0
	v_mov_b32_e32 v4, 0x7fc0
	v_cndmask_b32_sdwa v1, v4, v1, vcc dst_sel:DWORD dst_unused:UNUSED_PAD src0_sel:DWORD src1_sel:WORD_1
	global_store_short v[2:3], v1, off
	s_mov_b64 s[6:7], -1
	s_mov_b64 s[4:5], 0
.LBB18_211:
	s_mov_b64 s[8:9], 0
.LBB18_212:
	s_and_b64 vcc, exec, s[8:9]
	s_cbranch_vccz .LBB18_215
; %bb.213:
	s_cmp_eq_u32 s13, 11
	s_mov_b64 s[4:5], -1
	s_cbranch_scc0 .LBB18_215
; %bb.214:
	v_cmp_neq_f32_e32 vcc, 0, v0
	v_cndmask_b32_e64 v1, 0, 1, vcc
	s_mov_b64 s[6:7], -1
	s_mov_b64 s[4:5], 0
	global_store_byte v[2:3], v1, off
.LBB18_215:
	s_branch .LBB18_137
.LBB18_216:
	s_and_b32 s8, 0xffff, s12
	s_cmp_lt_i32 s8, 5
	s_mov_b64 s[6:7], -1
	s_cbranch_scc1 .LBB18_237
; %bb.217:
	s_cmp_lt_i32 s8, 8
	s_cbranch_scc1 .LBB18_227
; %bb.218:
	s_cmp_lt_i32 s8, 9
	s_cbranch_scc1 .LBB18_224
; %bb.219:
	s_cmp_gt_i32 s8, 9
	s_cbranch_scc0 .LBB18_221
; %bb.220:
	v_cvt_f64_f32_e32 v[4:5], v0
	v_mov_b32_e32 v6, 0
	v_mov_b32_e32 v7, v6
	s_mov_b64 s[6:7], 0
	global_store_dwordx4 v[2:3], v[4:7], off
.LBB18_221:
	s_andn2_b64 vcc, exec, s[6:7]
	s_cbranch_vccnz .LBB18_223
; %bb.222:
	v_mov_b32_e32 v1, 0
	global_store_dwordx2 v[2:3], v[0:1], off
.LBB18_223:
	s_mov_b64 s[6:7], 0
.LBB18_224:
	s_andn2_b64 vcc, exec, s[6:7]
	s_cbranch_vccnz .LBB18_226
; %bb.225:
	v_cvt_f16_f32_e32 v1, v0
	global_store_dword v[2:3], v1, off
.LBB18_226:
	s_mov_b64 s[6:7], 0
.LBB18_227:
	s_andn2_b64 vcc, exec, s[6:7]
	s_cbranch_vccnz .LBB18_236
; %bb.228:
	s_cmp_lt_i32 s8, 6
	s_mov_b64 s[6:7], -1
	s_cbranch_scc1 .LBB18_234
; %bb.229:
	s_cmp_gt_i32 s8, 6
	s_cbranch_scc0 .LBB18_231
; %bb.230:
	v_cvt_f64_f32_e32 v[4:5], v0
	s_mov_b64 s[6:7], 0
	global_store_dwordx2 v[2:3], v[4:5], off
.LBB18_231:
	s_andn2_b64 vcc, exec, s[6:7]
	s_cbranch_vccnz .LBB18_233
; %bb.232:
	global_store_dword v[2:3], v0, off
.LBB18_233:
	s_mov_b64 s[6:7], 0
.LBB18_234:
	s_andn2_b64 vcc, exec, s[6:7]
	s_cbranch_vccnz .LBB18_236
; %bb.235:
	v_cvt_f16_f32_e32 v1, v0
	global_store_short v[2:3], v1, off
.LBB18_236:
	s_mov_b64 s[6:7], 0
.LBB18_237:
	s_andn2_b64 vcc, exec, s[6:7]
	s_cbranch_vccnz .LBB18_253
; %bb.238:
	s_cmp_lt_i32 s8, 2
	s_mov_b64 s[6:7], -1
	s_cbranch_scc1 .LBB18_248
; %bb.239:
	s_cmp_lt_i32 s8, 3
	s_cbranch_scc1 .LBB18_245
; %bb.240:
	s_cmp_gt_i32 s8, 3
	s_cbranch_scc0 .LBB18_242
; %bb.241:
	v_trunc_f32_e32 v1, v0
	s_mov_b32 s6, 0x2f800000
	v_mul_f32_e64 v4, |v1|, s6
	v_floor_f32_e32 v4, v4
	s_mov_b32 s6, 0xcf800000
	v_cvt_u32_f32_e32 v5, v4
	v_fma_f32 v4, v4, s6, |v1|
	v_cvt_u32_f32_e32 v4, v4
	v_ashrrev_i32_e32 v1, 31, v1
	v_xor_b32_e32 v5, v5, v1
	s_mov_b64 s[6:7], 0
	v_xor_b32_e32 v4, v4, v1
	v_sub_co_u32_e32 v4, vcc, v4, v1
	v_subb_co_u32_e32 v5, vcc, v5, v1, vcc
	global_store_dwordx2 v[2:3], v[4:5], off
.LBB18_242:
	s_andn2_b64 vcc, exec, s[6:7]
	s_cbranch_vccnz .LBB18_244
; %bb.243:
	v_cvt_i32_f32_e32 v1, v0
	global_store_dword v[2:3], v1, off
.LBB18_244:
	s_mov_b64 s[6:7], 0
.LBB18_245:
	s_andn2_b64 vcc, exec, s[6:7]
	s_cbranch_vccnz .LBB18_247
; %bb.246:
	v_cvt_i32_f32_e32 v1, v0
	global_store_short v[2:3], v1, off
.LBB18_247:
	s_mov_b64 s[6:7], 0
.LBB18_248:
	s_andn2_b64 vcc, exec, s[6:7]
	s_cbranch_vccnz .LBB18_253
; %bb.249:
	s_cmp_gt_i32 s8, 0
	s_mov_b64 s[6:7], -1
	s_cbranch_scc0 .LBB18_251
; %bb.250:
	v_cvt_i32_f32_e32 v1, v0
	s_mov_b64 s[6:7], 0
	global_store_byte v[2:3], v1, off
.LBB18_251:
	s_andn2_b64 vcc, exec, s[6:7]
	s_cbranch_vccnz .LBB18_253
; %bb.252:
	v_trunc_f32_e32 v0, v0
	s_mov_b32 s6, 0x2f800000
	v_mul_f32_e64 v1, |v0|, s6
	v_floor_f32_e32 v1, v1
	s_mov_b32 s6, 0xcf800000
	v_fma_f32 v1, v1, s6, |v0|
	v_cvt_u32_f32_e32 v1, v1
	v_ashrrev_i32_e32 v0, 31, v0
	v_xor_b32_e32 v1, v1, v0
	v_sub_u32_e32 v0, v1, v0
	global_store_byte v[2:3], v0, off
.LBB18_253:
	s_branch .LBB18_138
.LBB18_254:
	s_mov_b64 s[6:7], 0
                                        ; implicit-def: $vgpr23
.LBB18_255:
	s_andn2_b64 s[8:9], s[42:43], exec
	s_and_b64 s[4:5], s[4:5], exec
	s_or_b64 s[46:47], s[8:9], s[4:5]
	s_orn2_b64 s[8:9], s[6:7], exec
.LBB18_256:
	s_or_b64 exec, exec, s[48:49]
	s_mov_b64 s[4:5], 0
	s_mov_b64 s[6:7], 0
                                        ; implicit-def: $sgpr14
                                        ; implicit-def: $vgpr2_vgpr3
                                        ; implicit-def: $vgpr0
	s_and_saveexec_b64 s[48:49], s[8:9]
	s_cbranch_execz .LBB18_467
; %bb.257:
	v_cmp_gt_i32_e32 vcc, s54, v23
	s_mov_b64 s[6:7], -1
	s_mov_b64 s[52:53], s[46:47]
	s_and_saveexec_b64 s[50:51], vcc
	s_cbranch_execz .LBB18_386
; %bb.258:
	s_getpc_b64 s[4:5]
	s_add_u32 s4, s4, _ZN2at6native6invokeIZZZNS0_12_GLOBAL__N_121bessel_j1_kernel_cudaERNS_18TensorIteratorBaseEENKUlvE_clEvENKUlvE0_clEvEUlfE_i15function_traitsIS7_EEENT1_11result_typeERKT_PrKPcPKT0_PKN3c1010ScalarTypeEi@rel32@lo+4
	s_addc_u32 s5, s5, _ZN2at6native6invokeIZZZNS0_12_GLOBAL__N_121bessel_j1_kernel_cudaERNS_18TensorIteratorBaseEENKUlvE_clEvENKUlvE0_clEvEUlfE_i15function_traitsIS7_EEENT1_11result_typeERKT_PrKPcPKT0_PKN3c1010ScalarTypeEi@rel32@hi+12
	v_mov_b32_e32 v0, s38
	v_mov_b32_e32 v1, s39
	;; [unrolled: 1-line block ×5, first 2 shown]
	s_swappc_b64 s[30:31], s[4:5]
	v_mul_lo_u32 v1, v23, s28
	v_mov_b32_e32 v3, s37
	s_and_b32 s12, s33, 0xff
	s_cmp_lt_i32 s12, 11
	v_ashrrev_i32_e32 v4, 31, v1
	v_add_co_u32_e32 v2, vcc, s36, v1
	v_addc_co_u32_e32 v3, vcc, v3, v4, vcc
	s_cbranch_scc1 .LBB18_265
; %bb.259:
	s_and_b32 s13, 0xffff, s12
	s_cmp_gt_i32 s13, 25
	s_cbranch_scc0 .LBB18_266
; %bb.260:
	s_cmp_gt_i32 s13, 28
	s_cbranch_scc0 .LBB18_267
; %bb.261:
	;; [unrolled: 3-line block ×4, first 2 shown]
	s_mov_b64 s[8:9], 0
	s_mov_b64 s[4:5], -1
	s_cmp_eq_u32 s13, 46
	s_mov_b64 s[6:7], 0
	s_cbranch_scc0 .LBB18_274
; %bb.264:
	v_bfe_u32 v1, v0, 16, 1
	s_movk_i32 s4, 0x7fff
	v_add3_u32 v1, v0, v1, s4
	v_cmp_o_f32_e32 vcc, v0, v0
	v_mov_b32_e32 v4, 0x7fc0
	v_cndmask_b32_sdwa v1, v4, v1, vcc dst_sel:DWORD dst_unused:UNUSED_PAD src0_sel:DWORD src1_sel:WORD_1
	global_store_dword v[2:3], v1, off
	s_mov_b64 s[6:7], -1
	s_mov_b64 s[4:5], 0
	s_branch .LBB18_274
.LBB18_265:
	s_mov_b64 s[8:9], -1
	s_mov_b64 s[6:7], 0
	s_mov_b64 s[4:5], s[46:47]
	s_branch .LBB18_343
.LBB18_266:
	s_mov_b64 s[8:9], -1
	s_mov_b64 s[6:7], 0
	s_mov_b64 s[4:5], s[46:47]
	s_branch .LBB18_301
.LBB18_267:
	s_mov_b64 s[8:9], -1
	s_mov_b64 s[6:7], 0
	s_mov_b64 s[4:5], s[46:47]
	s_branch .LBB18_284
.LBB18_268:
	s_andn2_saveexec_b64 s[10:11], s[10:11]
	s_cbranch_execz .LBB18_168
.LBB18_269:
	s_mov_b32 s14, 0x46000000
	v_add_f32_e64 v1, |v0|, s14
	v_and_b32_e32 v1, 0xff, v1
	v_cmp_ne_u32_e32 vcc, 0, v1
	s_andn2_b64 s[8:9], s[8:9], exec
	s_and_b64 s[14:15], vcc, exec
	s_or_b64 s[8:9], s[8:9], s[14:15]
	s_or_b64 exec, exec, s[10:11]
	v_mov_b32_e32 v4, 0
	s_and_saveexec_b64 s[10:11], s[8:9]
	s_cbranch_execnz .LBB18_169
	s_branch .LBB18_170
.LBB18_270:
	s_mov_b64 s[8:9], -1
	s_mov_b64 s[6:7], 0
	s_mov_b64 s[4:5], s[46:47]
	s_branch .LBB18_280
.LBB18_271:
	s_andn2_saveexec_b64 s[10:11], s[10:11]
	s_cbranch_execz .LBB18_181
.LBB18_272:
	s_mov_b32 s14, 0x42800000
	v_add_f32_e64 v1, |v0|, s14
	v_and_b32_e32 v1, 0xff, v1
	v_cmp_ne_u32_e32 vcc, 0, v1
	s_andn2_b64 s[8:9], s[8:9], exec
	s_and_b64 s[14:15], vcc, exec
	s_or_b64 s[8:9], s[8:9], s[14:15]
	s_or_b64 exec, exec, s[10:11]
	v_mov_b32_e32 v4, 0
	s_and_saveexec_b64 s[10:11], s[8:9]
	s_cbranch_execnz .LBB18_182
	s_branch .LBB18_183
.LBB18_273:
	s_mov_b64 s[8:9], -1
	s_mov_b64 s[6:7], 0
	s_mov_b64 s[4:5], s[46:47]
.LBB18_274:
	s_and_b64 vcc, exec, s[8:9]
	s_cbranch_vccz .LBB18_279
; %bb.275:
	s_cmp_eq_u32 s13, 44
	s_mov_b64 s[4:5], -1
	s_cbranch_scc0 .LBB18_279
; %bb.276:
	v_bfe_u32 v1, v0, 23, 8
	s_movk_i32 s4, 0xff
	v_cmp_ne_u32_e32 vcc, s4, v1
	v_mov_b32_e32 v4, 0xff
	s_and_saveexec_b64 s[6:7], vcc
; %bb.277:
	s_mov_b32 s4, 0x3fffff
	v_and_b32_e32 v5, 0x400000, v0
	v_and_or_b32 v1, v0, s4, v1
	v_cmp_ne_u32_e32 vcc, 0, v5
	v_cmp_ne_u32_e64 s[4:5], 0, v1
	s_and_b64 s[4:5], vcc, s[4:5]
	v_lshrrev_b32_e32 v4, 23, v0
	v_cndmask_b32_e64 v1, 0, 1, s[4:5]
	v_add_u32_e32 v4, v4, v1
; %bb.278:
	s_or_b64 exec, exec, s[6:7]
	s_mov_b64 s[6:7], -1
	s_mov_b64 s[4:5], 0
	global_store_byte v[2:3], v4, off
.LBB18_279:
	s_mov_b64 s[8:9], 0
.LBB18_280:
	s_and_b64 vcc, exec, s[8:9]
	s_cbranch_vccz .LBB18_283
; %bb.281:
	s_cmp_eq_u32 s13, 29
	s_mov_b64 s[4:5], -1
	s_cbranch_scc0 .LBB18_283
; %bb.282:
	v_trunc_f32_e32 v1, v0
	v_mul_f32_e32 v4, 0x2f800000, v1
	v_floor_f32_e32 v4, v4
	v_fmac_f32_e32 v1, 0xcf800000, v4
	v_cvt_u32_f32_e32 v5, v4
	v_cvt_u32_f32_e32 v4, v1
	s_mov_b64 s[6:7], -1
	s_mov_b64 s[4:5], 0
	s_mov_b64 s[8:9], 0
	global_store_dwordx2 v[2:3], v[4:5], off
	s_branch .LBB18_284
.LBB18_283:
	s_mov_b64 s[8:9], 0
.LBB18_284:
	s_and_b64 vcc, exec, s[8:9]
	s_cbranch_vccz .LBB18_300
; %bb.285:
	s_cmp_lt_i32 s13, 27
	s_mov_b64 s[6:7], -1
	s_cbranch_scc1 .LBB18_291
; %bb.286:
	v_cvt_u32_f32_e32 v1, v0
	s_cmp_gt_i32 s13, 27
	s_cbranch_scc0 .LBB18_288
; %bb.287:
	s_mov_b64 s[6:7], 0
	global_store_dword v[2:3], v1, off
.LBB18_288:
	s_andn2_b64 vcc, exec, s[6:7]
	s_cbranch_vccnz .LBB18_290
; %bb.289:
	global_store_short v[2:3], v1, off
.LBB18_290:
	s_mov_b64 s[6:7], 0
.LBB18_291:
	s_andn2_b64 vcc, exec, s[6:7]
	s_cbranch_vccnz .LBB18_299
; %bb.292:
	v_and_b32_e32 v1, 0x7fffffff, v0
	s_mov_b32 s6, 0x43800000
	v_cmp_gt_u32_e32 vcc, s6, v1
	v_mov_b32_e32 v4, 0x80
	s_and_saveexec_b64 s[6:7], vcc
	s_cbranch_execz .LBB18_298
; %bb.293:
	s_mov_b32 s8, 0x3bffffff
	v_cmp_lt_u32_e32 vcc, s8, v1
	s_mov_b64 s[8:9], 0
                                        ; implicit-def: $vgpr1
	s_and_saveexec_b64 s[10:11], vcc
	s_xor_b64 s[10:11], exec, s[10:11]
	s_cbranch_execz .LBB18_998
; %bb.294:
	v_bfe_u32 v1, v0, 20, 1
	s_mov_b32 s14, 0x487ffff
	v_add3_u32 v1, v0, v1, s14
	s_mov_b64 s[8:9], exec
	v_lshrrev_b32_e32 v1, 20, v1
	s_andn2_saveexec_b64 s[10:11], s[10:11]
	s_cbranch_execnz .LBB18_999
.LBB18_295:
	s_or_b64 exec, exec, s[10:11]
	v_mov_b32_e32 v4, 0
	s_and_saveexec_b64 s[10:11], s[8:9]
.LBB18_296:
	v_lshrrev_b32_e32 v4, 24, v0
	s_movk_i32 s8, 0x80
	v_and_or_b32 v4, v4, s8, v1
.LBB18_297:
	s_or_b64 exec, exec, s[10:11]
.LBB18_298:
	s_or_b64 exec, exec, s[6:7]
	global_store_byte v[2:3], v4, off
.LBB18_299:
	s_mov_b64 s[6:7], -1
.LBB18_300:
	s_mov_b64 s[8:9], 0
.LBB18_301:
	s_and_b64 vcc, exec, s[8:9]
	s_cbranch_vccz .LBB18_342
; %bb.302:
	s_cmp_gt_i32 s13, 22
	s_mov_b64 s[8:9], -1
	s_cbranch_scc0 .LBB18_334
; %bb.303:
	s_cmp_lt_i32 s13, 24
	s_mov_b64 s[6:7], -1
	s_cbranch_scc1 .LBB18_323
; %bb.304:
	s_cmp_gt_i32 s13, 24
	s_cbranch_scc0 .LBB18_312
; %bb.305:
	v_and_b32_e32 v1, 0x7fffffff, v0
	s_mov_b32 s6, 0x47800000
	v_cmp_gt_u32_e32 vcc, s6, v1
	v_mov_b32_e32 v4, 0x80
	s_and_saveexec_b64 s[6:7], vcc
	s_cbranch_execz .LBB18_311
; %bb.306:
	s_mov_b32 s8, 0x37ffffff
	v_cmp_lt_u32_e32 vcc, s8, v1
	s_mov_b64 s[8:9], 0
                                        ; implicit-def: $vgpr1
	s_and_saveexec_b64 s[10:11], vcc
	s_xor_b64 s[10:11], exec, s[10:11]
	s_cbranch_execz .LBB18_1005
; %bb.307:
	v_bfe_u32 v1, v0, 21, 1
	s_mov_b32 s14, 0x88fffff
	v_add3_u32 v1, v0, v1, s14
	s_mov_b64 s[8:9], exec
	v_lshrrev_b32_e32 v1, 21, v1
	s_andn2_saveexec_b64 s[10:11], s[10:11]
	s_cbranch_execnz .LBB18_1006
.LBB18_308:
	s_or_b64 exec, exec, s[10:11]
	v_mov_b32_e32 v4, 0
	s_and_saveexec_b64 s[10:11], s[8:9]
.LBB18_309:
	v_lshrrev_b32_e32 v4, 24, v0
	s_movk_i32 s8, 0x80
	v_and_or_b32 v4, v4, s8, v1
.LBB18_310:
	s_or_b64 exec, exec, s[10:11]
.LBB18_311:
	s_or_b64 exec, exec, s[6:7]
	s_mov_b64 s[6:7], 0
	global_store_byte v[2:3], v4, off
.LBB18_312:
	s_and_b64 vcc, exec, s[6:7]
	s_cbranch_vccz .LBB18_322
; %bb.313:
	v_and_b32_e32 v4, 0x7fffffff, v0
	s_mov_b32 s6, 0x43f00000
	v_cmp_gt_u32_e32 vcc, s6, v4
                                        ; implicit-def: $vgpr1
	s_and_saveexec_b64 s[6:7], vcc
	s_xor_b64 s[6:7], exec, s[6:7]
	s_cbranch_execz .LBB18_319
; %bb.314:
	s_mov_b32 s8, 0x3c7fffff
	v_cmp_lt_u32_e32 vcc, s8, v4
                                        ; implicit-def: $vgpr1
	s_and_saveexec_b64 s[8:9], vcc
	s_xor_b64 s[8:9], exec, s[8:9]
; %bb.315:
	v_bfe_u32 v1, v0, 20, 1
	s_mov_b32 s10, 0x407ffff
	v_add3_u32 v1, v0, v1, s10
	v_lshrrev_b32_e32 v4, 20, v1
	v_and_b32_e32 v1, 0xff00000, v1
	s_mov_b32 s10, 0x7f00000
	v_mov_b32_e32 v5, 0x7e
	v_cmp_ne_u32_e32 vcc, s10, v1
	v_cndmask_b32_e32 v1, v5, v4, vcc
; %bb.316:
	s_andn2_saveexec_b64 s[8:9], s[8:9]
; %bb.317:
	s_mov_b32 s10, 0x46800000
	v_add_f32_e64 v1, |v0|, s10
; %bb.318:
	s_or_b64 exec, exec, s[8:9]
                                        ; implicit-def: $vgpr4
.LBB18_319:
	s_andn2_saveexec_b64 s[6:7], s[6:7]
; %bb.320:
	s_mov_b32 s8, 0x7f800000
	v_mov_b32_e32 v1, 0x7e
	v_mov_b32_e32 v5, 0x7f
	v_cmp_lt_u32_e32 vcc, s8, v4
	v_cndmask_b32_e32 v1, v1, v5, vcc
; %bb.321:
	s_or_b64 exec, exec, s[6:7]
	v_lshrrev_b32_e32 v4, 24, v0
	s_movk_i32 s6, 0x80
	v_and_or_b32 v1, v4, s6, v1
	global_store_byte v[2:3], v1, off
.LBB18_322:
	s_mov_b64 s[6:7], 0
.LBB18_323:
	s_andn2_b64 vcc, exec, s[6:7]
	s_cbranch_vccnz .LBB18_333
; %bb.324:
	v_and_b32_e32 v4, 0x7fffffff, v0
	s_mov_b32 s6, 0x47800000
	v_cmp_gt_u32_e32 vcc, s6, v4
                                        ; implicit-def: $vgpr1
	s_and_saveexec_b64 s[6:7], vcc
	s_xor_b64 s[6:7], exec, s[6:7]
	s_cbranch_execz .LBB18_330
; %bb.325:
	s_mov_b32 s8, 0x387fffff
	v_cmp_lt_u32_e32 vcc, s8, v4
                                        ; implicit-def: $vgpr1
	s_and_saveexec_b64 s[8:9], vcc
	s_xor_b64 s[8:9], exec, s[8:9]
; %bb.326:
	v_bfe_u32 v1, v0, 21, 1
	s_mov_b32 s10, 0x80fffff
	v_add3_u32 v1, v0, v1, s10
	v_lshrrev_b32_e32 v1, 21, v1
; %bb.327:
	s_andn2_saveexec_b64 s[8:9], s[8:9]
; %bb.328:
	s_mov_b32 s10, 0x43000000
	v_add_f32_e64 v1, |v0|, s10
; %bb.329:
	s_or_b64 exec, exec, s[8:9]
                                        ; implicit-def: $vgpr4
.LBB18_330:
	s_andn2_saveexec_b64 s[6:7], s[6:7]
; %bb.331:
	s_mov_b32 s8, 0x7f800000
	v_mov_b32_e32 v1, 0x7c
	v_mov_b32_e32 v5, 0x7f
	v_cmp_lt_u32_e32 vcc, s8, v4
	v_cndmask_b32_e32 v1, v1, v5, vcc
; %bb.332:
	s_or_b64 exec, exec, s[6:7]
	v_lshrrev_b32_e32 v4, 24, v0
	s_movk_i32 s6, 0x80
	v_and_or_b32 v1, v4, s6, v1
	global_store_byte v[2:3], v1, off
.LBB18_333:
	s_mov_b64 s[8:9], 0
	s_mov_b64 s[6:7], -1
.LBB18_334:
	s_andn2_b64 vcc, exec, s[8:9]
	s_cbranch_vccnz .LBB18_342
; %bb.335:
	s_cmp_gt_i32 s13, 14
	s_mov_b64 s[8:9], -1
	s_cbranch_scc0 .LBB18_339
; %bb.336:
	s_cmp_eq_u32 s13, 15
	s_mov_b64 s[4:5], -1
	s_cbranch_scc0 .LBB18_338
; %bb.337:
	v_bfe_u32 v1, v0, 16, 1
	s_movk_i32 s4, 0x7fff
	v_add3_u32 v1, v0, v1, s4
	v_cmp_o_f32_e32 vcc, v0, v0
	v_mov_b32_e32 v4, 0x7fc0
	v_cndmask_b32_sdwa v1, v4, v1, vcc dst_sel:DWORD dst_unused:UNUSED_PAD src0_sel:DWORD src1_sel:WORD_1
	global_store_short v[2:3], v1, off
	s_mov_b64 s[6:7], -1
	s_mov_b64 s[4:5], 0
.LBB18_338:
	s_mov_b64 s[8:9], 0
.LBB18_339:
	s_and_b64 vcc, exec, s[8:9]
	s_cbranch_vccz .LBB18_342
; %bb.340:
	s_cmp_eq_u32 s13, 11
	s_mov_b64 s[4:5], -1
	s_cbranch_scc0 .LBB18_342
; %bb.341:
	v_cmp_neq_f32_e32 vcc, 0, v0
	v_cndmask_b32_e64 v1, 0, 1, vcc
	s_mov_b64 s[6:7], -1
	s_mov_b64 s[4:5], 0
	global_store_byte v[2:3], v1, off
.LBB18_342:
	s_mov_b64 s[8:9], 0
.LBB18_343:
	s_and_b64 vcc, exec, s[8:9]
	s_cbranch_vccz .LBB18_382
; %bb.344:
	s_and_b32 s8, 0xffff, s12
	s_cmp_lt_i32 s8, 5
	s_mov_b64 s[6:7], -1
	s_cbranch_scc1 .LBB18_365
; %bb.345:
	s_cmp_lt_i32 s8, 8
	s_cbranch_scc1 .LBB18_355
; %bb.346:
	s_cmp_lt_i32 s8, 9
	s_cbranch_scc1 .LBB18_352
; %bb.347:
	s_cmp_gt_i32 s8, 9
	s_cbranch_scc0 .LBB18_349
; %bb.348:
	v_cvt_f64_f32_e32 v[4:5], v0
	v_mov_b32_e32 v6, 0
	v_mov_b32_e32 v7, v6
	s_mov_b64 s[6:7], 0
	global_store_dwordx4 v[2:3], v[4:7], off
.LBB18_349:
	s_andn2_b64 vcc, exec, s[6:7]
	s_cbranch_vccnz .LBB18_351
; %bb.350:
	v_mov_b32_e32 v1, 0
	global_store_dwordx2 v[2:3], v[0:1], off
.LBB18_351:
	s_mov_b64 s[6:7], 0
.LBB18_352:
	s_andn2_b64 vcc, exec, s[6:7]
	s_cbranch_vccnz .LBB18_354
; %bb.353:
	v_cvt_f16_f32_e32 v1, v0
	global_store_dword v[2:3], v1, off
.LBB18_354:
	s_mov_b64 s[6:7], 0
.LBB18_355:
	s_andn2_b64 vcc, exec, s[6:7]
	s_cbranch_vccnz .LBB18_364
; %bb.356:
	s_cmp_lt_i32 s8, 6
	s_mov_b64 s[6:7], -1
	s_cbranch_scc1 .LBB18_362
; %bb.357:
	s_cmp_gt_i32 s8, 6
	s_cbranch_scc0 .LBB18_359
; %bb.358:
	v_cvt_f64_f32_e32 v[4:5], v0
	s_mov_b64 s[6:7], 0
	global_store_dwordx2 v[2:3], v[4:5], off
.LBB18_359:
	s_andn2_b64 vcc, exec, s[6:7]
	s_cbranch_vccnz .LBB18_361
; %bb.360:
	global_store_dword v[2:3], v0, off
.LBB18_361:
	s_mov_b64 s[6:7], 0
.LBB18_362:
	s_andn2_b64 vcc, exec, s[6:7]
	s_cbranch_vccnz .LBB18_364
; %bb.363:
	v_cvt_f16_f32_e32 v1, v0
	global_store_short v[2:3], v1, off
.LBB18_364:
	s_mov_b64 s[6:7], 0
.LBB18_365:
	s_andn2_b64 vcc, exec, s[6:7]
	s_cbranch_vccnz .LBB18_381
; %bb.366:
	s_cmp_lt_i32 s8, 2
	s_mov_b64 s[6:7], -1
	s_cbranch_scc1 .LBB18_376
; %bb.367:
	s_cmp_lt_i32 s8, 3
	s_cbranch_scc1 .LBB18_373
; %bb.368:
	s_cmp_gt_i32 s8, 3
	s_cbranch_scc0 .LBB18_370
; %bb.369:
	v_trunc_f32_e32 v1, v0
	s_mov_b32 s6, 0x2f800000
	v_mul_f32_e64 v4, |v1|, s6
	v_floor_f32_e32 v4, v4
	s_mov_b32 s6, 0xcf800000
	v_cvt_u32_f32_e32 v5, v4
	v_fma_f32 v4, v4, s6, |v1|
	v_cvt_u32_f32_e32 v4, v4
	v_ashrrev_i32_e32 v1, 31, v1
	v_xor_b32_e32 v5, v5, v1
	s_mov_b64 s[6:7], 0
	v_xor_b32_e32 v4, v4, v1
	v_sub_co_u32_e32 v4, vcc, v4, v1
	v_subb_co_u32_e32 v5, vcc, v5, v1, vcc
	global_store_dwordx2 v[2:3], v[4:5], off
.LBB18_370:
	s_andn2_b64 vcc, exec, s[6:7]
	s_cbranch_vccnz .LBB18_372
; %bb.371:
	v_cvt_i32_f32_e32 v1, v0
	global_store_dword v[2:3], v1, off
.LBB18_372:
	s_mov_b64 s[6:7], 0
.LBB18_373:
	s_andn2_b64 vcc, exec, s[6:7]
	s_cbranch_vccnz .LBB18_375
; %bb.374:
	v_cvt_i32_f32_e32 v1, v0
	global_store_short v[2:3], v1, off
.LBB18_375:
	s_mov_b64 s[6:7], 0
.LBB18_376:
	s_andn2_b64 vcc, exec, s[6:7]
	s_cbranch_vccnz .LBB18_381
; %bb.377:
	s_cmp_gt_i32 s8, 0
	s_mov_b64 s[6:7], -1
	s_cbranch_scc0 .LBB18_379
; %bb.378:
	v_cvt_i32_f32_e32 v1, v0
	s_mov_b64 s[6:7], 0
	global_store_byte v[2:3], v1, off
.LBB18_379:
	s_andn2_b64 vcc, exec, s[6:7]
	s_cbranch_vccnz .LBB18_381
; %bb.380:
	v_trunc_f32_e32 v0, v0
	s_mov_b32 s6, 0x2f800000
	v_mul_f32_e64 v1, |v0|, s6
	v_floor_f32_e32 v1, v1
	s_mov_b32 s6, 0xcf800000
	v_fma_f32 v1, v1, s6, |v0|
	v_cvt_u32_f32_e32 v1, v1
	v_ashrrev_i32_e32 v0, 31, v0
	v_xor_b32_e32 v1, v1, v0
	v_sub_u32_e32 v0, v1, v0
	global_store_byte v[2:3], v0, off
.LBB18_381:
	s_mov_b64 s[6:7], -1
.LBB18_382:
	s_andn2_b64 vcc, exec, s[6:7]
	s_cbranch_vccnz .LBB18_384
; %bb.383:
	v_add_u32_e32 v23, 0x80, v23
	s_mov_b64 s[6:7], -1
	s_branch .LBB18_385
.LBB18_384:
	s_mov_b64 s[6:7], 0
                                        ; implicit-def: $vgpr23
.LBB18_385:
	s_andn2_b64 s[8:9], s[46:47], exec
	s_and_b64 s[4:5], s[4:5], exec
	s_or_b64 s[52:53], s[8:9], s[4:5]
	s_orn2_b64 s[6:7], s[6:7], exec
.LBB18_386:
	s_or_b64 exec, exec, s[50:51]
	s_mov_b64 s[4:5], 0
	s_mov_b64 s[10:11], 0
                                        ; implicit-def: $sgpr14
                                        ; implicit-def: $vgpr2_vgpr3
                                        ; implicit-def: $vgpr0
	s_and_saveexec_b64 s[50:51], s[6:7]
	s_cbranch_execz .LBB18_466
; %bb.387:
	v_cmp_gt_i32_e32 vcc, s54, v23
	s_mov_b64 s[6:7], 0
	s_mov_b64 s[8:9], s[52:53]
                                        ; implicit-def: $sgpr14
                                        ; implicit-def: $vgpr2_vgpr3
                                        ; implicit-def: $vgpr0
	s_and_saveexec_b64 s[54:55], vcc
	s_cbranch_execz .LBB18_465
; %bb.388:
	s_getpc_b64 s[4:5]
	s_add_u32 s4, s4, _ZN2at6native6invokeIZZZNS0_12_GLOBAL__N_121bessel_j1_kernel_cudaERNS_18TensorIteratorBaseEENKUlvE_clEvENKUlvE0_clEvEUlfE_i15function_traitsIS7_EEENT1_11result_typeERKT_PrKPcPKT0_PKN3c1010ScalarTypeEi@rel32@lo+4
	s_addc_u32 s5, s5, _ZN2at6native6invokeIZZZNS0_12_GLOBAL__N_121bessel_j1_kernel_cudaERNS_18TensorIteratorBaseEENKUlvE_clEvENKUlvE0_clEvEUlfE_i15function_traitsIS7_EEENT1_11result_typeERKT_PrKPcPKT0_PKN3c1010ScalarTypeEi@rel32@hi+12
	v_mov_b32_e32 v0, s38
	v_mov_b32_e32 v1, s39
	;; [unrolled: 1-line block ×5, first 2 shown]
	s_swappc_b64 s[30:31], s[4:5]
	v_mul_lo_u32 v1, v23, s28
	v_mov_b32_e32 v3, s37
	s_and_b32 s14, s33, 0xff
	s_cmp_lt_i32 s14, 11
	v_ashrrev_i32_e32 v4, 31, v1
	v_add_co_u32_e32 v2, vcc, s36, v1
	v_addc_co_u32_e32 v3, vcc, v3, v4, vcc
	s_cbranch_scc1 .LBB18_405
; %bb.389:
	s_and_b32 s15, 0xffff, s14
	s_mov_b64 s[8:9], -1
	s_cmp_gt_i32 s15, 25
	s_mov_b64 s[4:5], s[52:53]
	s_cbranch_scc0 .LBB18_423
; %bb.390:
	s_mov_b64 s[6:7], -1
	s_cmp_gt_i32 s15, 28
	s_mov_b64 s[4:5], s[52:53]
	s_cbranch_scc0 .LBB18_407
; %bb.391:
	s_cmp_gt_i32 s15, 43
	s_mov_b64 s[4:5], s[52:53]
	s_cbranch_scc0 .LBB18_402
; %bb.392:
	;; [unrolled: 4-line block ×3, first 2 shown]
	s_cmp_eq_u32 s15, 46
	s_mov_b64 s[4:5], -1
	s_cbranch_scc0 .LBB18_395
; %bb.394:
	v_bfe_u32 v1, v0, 16, 1
	s_movk_i32 s4, 0x7fff
	v_add3_u32 v1, v0, v1, s4
	v_cmp_o_f32_e32 vcc, v0, v0
	v_mov_b32_e32 v4, 0x7fc0
	v_cndmask_b32_sdwa v1, v4, v1, vcc dst_sel:DWORD dst_unused:UNUSED_PAD src0_sel:DWORD src1_sel:WORD_1
	global_store_dword v[2:3], v1, off
	s_mov_b64 s[4:5], 0
.LBB18_395:
	s_mov_b64 s[6:7], 0
.LBB18_396:
	s_and_b64 vcc, exec, s[6:7]
	s_cbranch_vccz .LBB18_401
; %bb.397:
	s_cmp_eq_u32 s15, 44
	s_mov_b64 s[4:5], -1
	s_cbranch_scc0 .LBB18_401
; %bb.398:
	v_bfe_u32 v1, v0, 23, 8
	s_movk_i32 s4, 0xff
	v_cmp_ne_u32_e32 vcc, s4, v1
	v_mov_b32_e32 v4, 0xff
	s_and_saveexec_b64 s[6:7], vcc
; %bb.399:
	s_mov_b32 s4, 0x3fffff
	v_and_b32_e32 v5, 0x400000, v0
	v_and_or_b32 v1, v0, s4, v1
	v_cmp_ne_u32_e32 vcc, 0, v5
	v_cmp_ne_u32_e64 s[4:5], 0, v1
	s_and_b64 s[4:5], vcc, s[4:5]
	v_lshrrev_b32_e32 v4, 23, v0
	v_cndmask_b32_e64 v1, 0, 1, s[4:5]
	v_add_u32_e32 v4, v4, v1
; %bb.400:
	s_or_b64 exec, exec, s[6:7]
	s_mov_b64 s[4:5], 0
	global_store_byte v[2:3], v4, off
.LBB18_401:
	s_mov_b64 s[6:7], 0
.LBB18_402:
	s_and_b64 vcc, exec, s[6:7]
	s_cbranch_vccz .LBB18_406
; %bb.403:
	s_cmp_eq_u32 s15, 29
	s_mov_b64 s[4:5], -1
	s_cbranch_scc0 .LBB18_406
; %bb.404:
	v_trunc_f32_e32 v1, v0
	v_mul_f32_e32 v4, 0x2f800000, v1
	v_floor_f32_e32 v4, v4
	v_fmac_f32_e32 v1, 0xcf800000, v4
	v_cvt_u32_f32_e32 v5, v4
	v_cvt_u32_f32_e32 v4, v1
	s_mov_b64 s[4:5], 0
	s_mov_b64 s[6:7], 0
	global_store_dwordx2 v[2:3], v[4:5], off
	s_branch .LBB18_407
.LBB18_405:
	s_mov_b64 s[8:9], 0
	s_mov_b64 s[6:7], -1
	s_mov_b64 s[4:5], s[52:53]
	s_branch .LBB18_464
.LBB18_406:
	s_mov_b64 s[6:7], 0
.LBB18_407:
	s_and_b64 vcc, exec, s[6:7]
	s_cbranch_vccz .LBB18_422
; %bb.408:
	s_cmp_lt_i32 s15, 27
	s_mov_b64 s[6:7], -1
	s_cbranch_scc1 .LBB18_414
; %bb.409:
	v_cvt_u32_f32_e32 v1, v0
	s_cmp_gt_i32 s15, 27
	s_cbranch_scc0 .LBB18_411
; %bb.410:
	s_mov_b64 s[6:7], 0
	global_store_dword v[2:3], v1, off
.LBB18_411:
	s_andn2_b64 vcc, exec, s[6:7]
	s_cbranch_vccnz .LBB18_413
; %bb.412:
	global_store_short v[2:3], v1, off
.LBB18_413:
	s_mov_b64 s[6:7], 0
.LBB18_414:
	s_andn2_b64 vcc, exec, s[6:7]
	s_cbranch_vccnz .LBB18_422
; %bb.415:
	v_and_b32_e32 v1, 0x7fffffff, v0
	s_mov_b32 s6, 0x43800000
	v_cmp_gt_u32_e32 vcc, s6, v1
	v_mov_b32_e32 v4, 0x80
	s_and_saveexec_b64 s[6:7], vcc
	s_cbranch_execz .LBB18_421
; %bb.416:
	s_mov_b32 s8, 0x3bffffff
	v_cmp_lt_u32_e32 vcc, s8, v1
	s_mov_b64 s[8:9], 0
                                        ; implicit-def: $vgpr1
	s_and_saveexec_b64 s[10:11], vcc
	s_xor_b64 s[10:11], exec, s[10:11]
	s_cbranch_execz .LBB18_1007
; %bb.417:
	v_bfe_u32 v1, v0, 20, 1
	s_mov_b32 s12, 0x487ffff
	v_add3_u32 v1, v0, v1, s12
	s_mov_b64 s[8:9], exec
	v_lshrrev_b32_e32 v1, 20, v1
	s_andn2_saveexec_b64 s[10:11], s[10:11]
	s_cbranch_execnz .LBB18_1008
.LBB18_418:
	s_or_b64 exec, exec, s[10:11]
	v_mov_b32_e32 v4, 0
	s_and_saveexec_b64 s[10:11], s[8:9]
.LBB18_419:
	v_lshrrev_b32_e32 v4, 24, v0
	s_movk_i32 s8, 0x80
	v_and_or_b32 v4, v4, s8, v1
.LBB18_420:
	s_or_b64 exec, exec, s[10:11]
.LBB18_421:
	s_or_b64 exec, exec, s[6:7]
	global_store_byte v[2:3], v4, off
.LBB18_422:
	s_mov_b64 s[8:9], 0
.LBB18_423:
	s_mov_b64 s[6:7], 0
	s_and_b64 vcc, exec, s[8:9]
	s_cbranch_vccz .LBB18_463
; %bb.424:
	s_cmp_gt_i32 s15, 22
	s_mov_b64 s[8:9], -1
	s_cbranch_scc0 .LBB18_456
; %bb.425:
	s_cmp_lt_i32 s15, 24
	s_cbranch_scc1 .LBB18_445
; %bb.426:
	s_cmp_gt_i32 s15, 24
	s_cbranch_scc0 .LBB18_434
; %bb.427:
	v_and_b32_e32 v1, 0x7fffffff, v0
	s_mov_b32 s8, 0x47800000
	v_cmp_gt_u32_e32 vcc, s8, v1
	v_mov_b32_e32 v4, 0x80
	s_and_saveexec_b64 s[8:9], vcc
	s_cbranch_execz .LBB18_433
; %bb.428:
	s_mov_b32 s10, 0x37ffffff
	v_cmp_lt_u32_e32 vcc, s10, v1
	s_mov_b64 s[10:11], 0
                                        ; implicit-def: $vgpr1
	s_and_saveexec_b64 s[12:13], vcc
	s_xor_b64 s[12:13], exec, s[12:13]
	s_cbranch_execz .LBB18_1011
; %bb.429:
	v_bfe_u32 v1, v0, 21, 1
	s_mov_b32 s16, 0x88fffff
	v_add3_u32 v1, v0, v1, s16
	s_mov_b64 s[10:11], exec
	v_lshrrev_b32_e32 v1, 21, v1
	s_andn2_saveexec_b64 s[12:13], s[12:13]
	s_cbranch_execnz .LBB18_1012
.LBB18_430:
	s_or_b64 exec, exec, s[12:13]
	v_mov_b32_e32 v4, 0
	s_and_saveexec_b64 s[12:13], s[10:11]
.LBB18_431:
	v_lshrrev_b32_e32 v4, 24, v0
	s_movk_i32 s10, 0x80
	v_and_or_b32 v4, v4, s10, v1
.LBB18_432:
	s_or_b64 exec, exec, s[12:13]
.LBB18_433:
	s_or_b64 exec, exec, s[8:9]
	s_mov_b64 s[8:9], 0
	global_store_byte v[2:3], v4, off
.LBB18_434:
	s_and_b64 vcc, exec, s[8:9]
	s_cbranch_vccz .LBB18_444
; %bb.435:
	v_and_b32_e32 v4, 0x7fffffff, v0
	s_mov_b32 s8, 0x43f00000
	v_cmp_gt_u32_e32 vcc, s8, v4
                                        ; implicit-def: $vgpr1
	s_and_saveexec_b64 s[8:9], vcc
	s_xor_b64 s[8:9], exec, s[8:9]
	s_cbranch_execz .LBB18_441
; %bb.436:
	s_mov_b32 s10, 0x3c7fffff
	v_cmp_lt_u32_e32 vcc, s10, v4
                                        ; implicit-def: $vgpr1
	s_and_saveexec_b64 s[10:11], vcc
	s_xor_b64 s[10:11], exec, s[10:11]
; %bb.437:
	v_bfe_u32 v1, v0, 20, 1
	s_mov_b32 s12, 0x407ffff
	v_add3_u32 v1, v0, v1, s12
	v_lshrrev_b32_e32 v4, 20, v1
	v_and_b32_e32 v1, 0xff00000, v1
	s_mov_b32 s12, 0x7f00000
	v_mov_b32_e32 v5, 0x7e
	v_cmp_ne_u32_e32 vcc, s12, v1
	v_cndmask_b32_e32 v1, v5, v4, vcc
; %bb.438:
	s_andn2_saveexec_b64 s[10:11], s[10:11]
; %bb.439:
	s_mov_b32 s12, 0x46800000
	v_add_f32_e64 v1, |v0|, s12
; %bb.440:
	s_or_b64 exec, exec, s[10:11]
                                        ; implicit-def: $vgpr4
.LBB18_441:
	s_andn2_saveexec_b64 s[8:9], s[8:9]
; %bb.442:
	s_mov_b32 s10, 0x7f800000
	v_mov_b32_e32 v1, 0x7e
	v_mov_b32_e32 v5, 0x7f
	v_cmp_lt_u32_e32 vcc, s10, v4
	v_cndmask_b32_e32 v1, v1, v5, vcc
; %bb.443:
	s_or_b64 exec, exec, s[8:9]
	v_lshrrev_b32_e32 v4, 24, v0
	s_movk_i32 s8, 0x80
	v_and_or_b32 v1, v4, s8, v1
	global_store_byte v[2:3], v1, off
.LBB18_444:
	s_mov_b64 s[8:9], 0
.LBB18_445:
	s_andn2_b64 vcc, exec, s[8:9]
	s_cbranch_vccnz .LBB18_455
; %bb.446:
	v_and_b32_e32 v4, 0x7fffffff, v0
	s_mov_b32 s8, 0x47800000
	v_cmp_gt_u32_e32 vcc, s8, v4
                                        ; implicit-def: $vgpr1
	s_and_saveexec_b64 s[8:9], vcc
	s_xor_b64 s[8:9], exec, s[8:9]
	s_cbranch_execz .LBB18_452
; %bb.447:
	s_mov_b32 s10, 0x387fffff
	v_cmp_lt_u32_e32 vcc, s10, v4
                                        ; implicit-def: $vgpr1
	s_and_saveexec_b64 s[10:11], vcc
	s_xor_b64 s[10:11], exec, s[10:11]
; %bb.448:
	v_bfe_u32 v1, v0, 21, 1
	s_mov_b32 s12, 0x80fffff
	v_add3_u32 v1, v0, v1, s12
	v_lshrrev_b32_e32 v1, 21, v1
; %bb.449:
	s_andn2_saveexec_b64 s[10:11], s[10:11]
; %bb.450:
	s_mov_b32 s12, 0x43000000
	v_add_f32_e64 v1, |v0|, s12
; %bb.451:
	s_or_b64 exec, exec, s[10:11]
                                        ; implicit-def: $vgpr4
.LBB18_452:
	s_andn2_saveexec_b64 s[8:9], s[8:9]
; %bb.453:
	s_mov_b32 s10, 0x7f800000
	v_mov_b32_e32 v1, 0x7c
	v_mov_b32_e32 v5, 0x7f
	v_cmp_lt_u32_e32 vcc, s10, v4
	v_cndmask_b32_e32 v1, v1, v5, vcc
; %bb.454:
	s_or_b64 exec, exec, s[8:9]
	v_lshrrev_b32_e32 v4, 24, v0
	s_movk_i32 s8, 0x80
	v_and_or_b32 v1, v4, s8, v1
	global_store_byte v[2:3], v1, off
.LBB18_455:
	s_mov_b64 s[8:9], 0
.LBB18_456:
	s_andn2_b64 vcc, exec, s[8:9]
	s_mov_b64 s[8:9], 0
	s_cbranch_vccnz .LBB18_464
; %bb.457:
	s_cmp_gt_i32 s15, 14
	s_mov_b64 s[10:11], -1
	s_cbranch_scc0 .LBB18_461
; %bb.458:
	s_cmp_eq_u32 s15, 15
	s_mov_b64 s[4:5], -1
	s_cbranch_scc0 .LBB18_460
; %bb.459:
	v_bfe_u32 v1, v0, 16, 1
	s_movk_i32 s4, 0x7fff
	v_add3_u32 v1, v0, v1, s4
	v_cmp_o_f32_e32 vcc, v0, v0
	v_mov_b32_e32 v4, 0x7fc0
	v_cndmask_b32_sdwa v1, v4, v1, vcc dst_sel:DWORD dst_unused:UNUSED_PAD src0_sel:DWORD src1_sel:WORD_1
	global_store_short v[2:3], v1, off
	s_mov_b64 s[4:5], 0
.LBB18_460:
	s_mov_b64 s[10:11], 0
.LBB18_461:
	s_and_b64 vcc, exec, s[10:11]
	s_cbranch_vccz .LBB18_464
; %bb.462:
	s_cmp_lg_u32 s15, 11
	s_cselect_b64 s[10:11], -1, 0
	s_andn2_b64 s[4:5], s[4:5], exec
	s_and_b64 s[10:11], s[10:11], exec
	s_mov_b64 s[8:9], -1
	s_or_b64 s[4:5], s[4:5], s[10:11]
	s_branch .LBB18_464
.LBB18_463:
	s_mov_b64 s[8:9], 0
.LBB18_464:
	s_and_b64 s[10:11], s[6:7], exec
	s_and_b64 s[6:7], s[8:9], exec
	s_andn2_b64 s[8:9], s[52:53], exec
	s_and_b64 s[4:5], s[4:5], exec
	s_or_b64 s[8:9], s[8:9], s[4:5]
.LBB18_465:
	s_or_b64 exec, exec, s[54:55]
	s_and_b64 s[4:5], s[6:7], exec
	s_andn2_b64 s[6:7], s[52:53], exec
	s_and_b64 s[8:9], s[8:9], exec
	s_and_b64 s[10:11], s[10:11], exec
	s_or_b64 s[52:53], s[6:7], s[8:9]
.LBB18_466:
	s_or_b64 exec, exec, s[50:51]
	s_and_b64 s[6:7], s[10:11], exec
	s_andn2_b64 s[8:9], s[46:47], exec
	s_and_b64 s[10:11], s[52:53], exec
	s_and_b64 s[4:5], s[4:5], exec
	s_or_b64 s[46:47], s[8:9], s[10:11]
.LBB18_467:
	s_or_b64 exec, exec, s[48:49]
	s_and_b64 s[48:49], s[4:5], exec
	s_andn2_b64 s[4:5], s[42:43], exec
	s_and_b64 s[8:9], s[46:47], exec
	s_and_b64 s[6:7], s[6:7], exec
	s_or_b64 s[42:43], s[4:5], s[8:9]
	s_or_b64 exec, exec, s[44:45]
	s_mov_b64 s[4:5], 0
	s_and_saveexec_b64 s[8:9], s[42:43]
	s_cbranch_execz .LBB18_134
.LBB18_468:
	s_mov_b64 s[4:5], exec
	s_andn2_b64 s[48:49], s[48:49], exec
	s_trap 2
	s_or_b64 exec, exec, s[8:9]
	s_and_saveexec_b64 s[8:9], s[48:49]
	s_xor_b64 s[8:9], exec, s[8:9]
	s_cbranch_execnz .LBB18_135
.LBB18_469:
	s_or_b64 exec, exec, s[8:9]
	s_and_saveexec_b64 s[8:9], s[6:7]
	s_xor_b64 s[6:7], exec, s[8:9]
	s_cbranch_execz .LBB18_507
.LBB18_470:
	s_sext_i32_i16 s10, s14
	s_cmp_lt_i32 s10, 5
	s_mov_b64 s[8:9], -1
	s_cbranch_scc1 .LBB18_491
; %bb.471:
	s_cmp_lt_i32 s10, 8
	s_cbranch_scc1 .LBB18_481
; %bb.472:
	s_cmp_lt_i32 s10, 9
	s_cbranch_scc1 .LBB18_478
; %bb.473:
	s_cmp_gt_i32 s10, 9
	s_cbranch_scc0 .LBB18_475
; %bb.474:
	v_cvt_f64_f32_e32 v[4:5], v0
	v_mov_b32_e32 v6, 0
	v_mov_b32_e32 v7, v6
	s_mov_b64 s[8:9], 0
	global_store_dwordx4 v[2:3], v[4:7], off
.LBB18_475:
	s_andn2_b64 vcc, exec, s[8:9]
	s_cbranch_vccnz .LBB18_477
; %bb.476:
	v_mov_b32_e32 v1, 0
	global_store_dwordx2 v[2:3], v[0:1], off
.LBB18_477:
	s_mov_b64 s[8:9], 0
.LBB18_478:
	s_andn2_b64 vcc, exec, s[8:9]
	s_cbranch_vccnz .LBB18_480
; %bb.479:
	v_cvt_f16_f32_e32 v1, v0
	global_store_dword v[2:3], v1, off
.LBB18_480:
	s_mov_b64 s[8:9], 0
.LBB18_481:
	s_andn2_b64 vcc, exec, s[8:9]
	s_cbranch_vccnz .LBB18_490
; %bb.482:
	s_sext_i32_i16 s10, s14
	s_cmp_lt_i32 s10, 6
	s_mov_b64 s[8:9], -1
	s_cbranch_scc1 .LBB18_488
; %bb.483:
	s_cmp_gt_i32 s10, 6
	s_cbranch_scc0 .LBB18_485
; %bb.484:
	v_cvt_f64_f32_e32 v[4:5], v0
	s_mov_b64 s[8:9], 0
	global_store_dwordx2 v[2:3], v[4:5], off
.LBB18_485:
	s_andn2_b64 vcc, exec, s[8:9]
	s_cbranch_vccnz .LBB18_487
; %bb.486:
	global_store_dword v[2:3], v0, off
.LBB18_487:
	s_mov_b64 s[8:9], 0
.LBB18_488:
	s_andn2_b64 vcc, exec, s[8:9]
	s_cbranch_vccnz .LBB18_490
; %bb.489:
	v_cvt_f16_f32_e32 v1, v0
	global_store_short v[2:3], v1, off
.LBB18_490:
	s_mov_b64 s[8:9], 0
.LBB18_491:
	s_andn2_b64 vcc, exec, s[8:9]
	s_cbranch_vccnz .LBB18_507
; %bb.492:
	s_sext_i32_i16 s10, s14
	s_cmp_lt_i32 s10, 2
	s_mov_b64 s[8:9], -1
	s_cbranch_scc1 .LBB18_502
; %bb.493:
	s_cmp_lt_i32 s10, 3
	s_cbranch_scc1 .LBB18_499
; %bb.494:
	s_cmp_gt_i32 s10, 3
	s_cbranch_scc0 .LBB18_496
; %bb.495:
	v_trunc_f32_e32 v1, v0
	s_mov_b32 s8, 0x2f800000
	v_mul_f32_e64 v4, |v1|, s8
	v_floor_f32_e32 v4, v4
	s_mov_b32 s8, 0xcf800000
	v_cvt_u32_f32_e32 v5, v4
	v_fma_f32 v4, v4, s8, |v1|
	v_cvt_u32_f32_e32 v4, v4
	v_ashrrev_i32_e32 v1, 31, v1
	v_xor_b32_e32 v5, v5, v1
	s_mov_b64 s[8:9], 0
	v_xor_b32_e32 v4, v4, v1
	v_sub_co_u32_e32 v4, vcc, v4, v1
	v_subb_co_u32_e32 v5, vcc, v5, v1, vcc
	global_store_dwordx2 v[2:3], v[4:5], off
.LBB18_496:
	s_andn2_b64 vcc, exec, s[8:9]
	s_cbranch_vccnz .LBB18_498
; %bb.497:
	v_cvt_i32_f32_e32 v1, v0
	global_store_dword v[2:3], v1, off
.LBB18_498:
	s_mov_b64 s[8:9], 0
.LBB18_499:
	s_andn2_b64 vcc, exec, s[8:9]
	s_cbranch_vccnz .LBB18_501
; %bb.500:
	v_cvt_i32_f32_e32 v1, v0
	global_store_short v[2:3], v1, off
.LBB18_501:
	s_mov_b64 s[8:9], 0
.LBB18_502:
	s_andn2_b64 vcc, exec, s[8:9]
	s_cbranch_vccnz .LBB18_507
; %bb.503:
	s_sext_i32_i16 s8, s14
	s_cmp_gt_i32 s8, 0
	s_mov_b64 s[8:9], -1
	s_cbranch_scc0 .LBB18_505
; %bb.504:
	v_cvt_i32_f32_e32 v1, v0
	s_mov_b64 s[8:9], 0
	global_store_byte v[2:3], v1, off
.LBB18_505:
	s_andn2_b64 vcc, exec, s[8:9]
	s_cbranch_vccnz .LBB18_507
; %bb.506:
	v_trunc_f32_e32 v0, v0
	s_mov_b32 s8, 0x2f800000
	v_mul_f32_e64 v1, |v0|, s8
	v_floor_f32_e32 v1, v1
	s_mov_b32 s8, 0xcf800000
	v_fma_f32 v1, v1, s8, |v0|
	v_cvt_u32_f32_e32 v1, v1
	v_ashrrev_i32_e32 v0, 31, v0
	v_xor_b32_e32 v1, v1, v0
	v_sub_u32_e32 v0, v1, v0
	global_store_byte v[2:3], v0, off
.LBB18_507:
	s_or_b64 exec, exec, s[6:7]
	s_and_b64 s[42:43], s[4:5], exec
                                        ; implicit-def: $vgpr23
                                        ; implicit-def: $vgpr24
                                        ; implicit-def: $vgpr25
.LBB18_508:
	s_or_saveexec_b64 s[40:41], s[40:41]
	s_mov_b64 s[4:5], 0
                                        ; implicit-def: $sgpr16
                                        ; implicit-def: $vgpr2_vgpr3
                                        ; implicit-def: $vgpr0
	s_xor_b64 exec, exec, s[40:41]
	s_cbranch_execz .LBB18_941
; %bb.509:
	s_getpc_b64 s[34:35]
	s_add_u32 s34, s34, _ZN2at6native6invokeIZZZNS0_12_GLOBAL__N_121bessel_j1_kernel_cudaERNS_18TensorIteratorBaseEENKUlvE_clEvENKUlvE0_clEvEUlfE_i15function_traitsIS7_EEENT1_11result_typeERKT_PrKPcPKT0_PKN3c1010ScalarTypeEi@rel32@lo+4
	s_addc_u32 s35, s35, _ZN2at6native6invokeIZZZNS0_12_GLOBAL__N_121bessel_j1_kernel_cudaERNS_18TensorIteratorBaseEENKUlvE_clEvENKUlvE0_clEvEUlfE_i15function_traitsIS7_EEENT1_11result_typeERKT_PrKPcPKT0_PKN3c1010ScalarTypeEi@rel32@hi+12
	v_mov_b32_e32 v0, s38
	v_mov_b32_e32 v1, s39
	;; [unrolled: 1-line block ×5, first 2 shown]
	v_add_u32_e32 v20, 0x80, v23
	v_add_u32_e32 v26, 0x100, v23
	s_swappc_b64 s[30:31], s[34:35]
	v_mov_b32_e32 v22, v0
	v_mov_b32_e32 v0, s38
	v_mov_b32_e32 v1, s39
	v_mov_b32_e32 v2, s29
	v_mov_b32_e32 v3, v24
	v_mov_b32_e32 v4, v20
	s_swappc_b64 s[30:31], s[34:35]
	v_mov_b32_e32 v21, v0
	v_mov_b32_e32 v0, s38
	v_mov_b32_e32 v1, s39
	v_mov_b32_e32 v2, s29
	v_mov_b32_e32 v3, v24
	v_mov_b32_e32 v4, v26
	;; [unrolled: 7-line block ×3, first 2 shown]
	s_swappc_b64 s[30:31], s[34:35]
	v_mul_lo_u32 v3, s28, v23
	v_mov_b32_e32 v2, s37
	s_and_b32 s16, s33, 0xff
	s_cmp_lt_i32 s16, 11
	v_ashrrev_i32_e32 v4, 31, v3
	v_add_co_u32_e32 v1, vcc, s36, v3
	v_addc_co_u32_e32 v2, vcc, v2, v4, vcc
	s_cbranch_scc1 .LBB18_588
; %bb.510:
	s_and_b32 s14, 0xffff, s16
	s_mov_b64 s[6:7], -1
	s_mov_b64 s[8:9], 0
	s_cmp_gt_i32 s14, 25
	s_mov_b64 s[10:11], 0
	s_mov_b64 s[4:5], 0
	s_cbranch_scc0 .LBB18_543
; %bb.511:
	s_cmp_gt_i32 s14, 28
	s_cbranch_scc0 .LBB18_526
; %bb.512:
	s_cmp_gt_i32 s14, 43
	;; [unrolled: 3-line block ×3, first 2 shown]
	s_cbranch_scc0 .LBB18_516
; %bb.514:
	s_mov_b64 s[4:5], -1
	s_mov_b64 s[6:7], 0
	s_cmp_eq_u32 s14, 46
	s_cbranch_scc0 .LBB18_516
; %bb.515:
	v_bfe_u32 v4, v22, 16, 1
	s_movk_i32 s4, 0x7fff
	v_add3_u32 v4, v22, v4, s4
	v_cmp_o_f32_e32 vcc, v22, v22
	v_mov_b32_e32 v5, 0x7fc0
	v_cndmask_b32_sdwa v4, v5, v4, vcc dst_sel:DWORD dst_unused:UNUSED_PAD src0_sel:DWORD src1_sel:WORD_1
	global_store_dword v[1:2], v4, off
	s_mov_b64 s[4:5], 0
	s_mov_b64 s[10:11], -1
.LBB18_516:
	s_and_b64 vcc, exec, s[6:7]
	s_cbranch_vccz .LBB18_521
; %bb.517:
	s_cmp_eq_u32 s14, 44
	s_mov_b64 s[4:5], -1
	s_cbranch_scc0 .LBB18_521
; %bb.518:
	v_bfe_u32 v4, v22, 23, 8
	s_movk_i32 s4, 0xff
	v_cmp_ne_u32_e32 vcc, s4, v4
	v_mov_b32_e32 v5, 0xff
	s_and_saveexec_b64 s[6:7], vcc
; %bb.519:
	s_mov_b32 s4, 0x3fffff
	v_and_b32_e32 v6, 0x400000, v22
	v_and_or_b32 v4, v22, s4, v4
	v_cmp_ne_u32_e32 vcc, 0, v6
	v_cmp_ne_u32_e64 s[4:5], 0, v4
	s_and_b64 s[4:5], vcc, s[4:5]
	v_lshrrev_b32_e32 v5, 23, v22
	v_cndmask_b32_e64 v4, 0, 1, s[4:5]
	v_add_u32_e32 v5, v5, v4
; %bb.520:
	s_or_b64 exec, exec, s[6:7]
	s_mov_b64 s[4:5], 0
	s_mov_b64 s[10:11], -1
	global_store_byte v[1:2], v5, off
.LBB18_521:
	s_mov_b64 s[6:7], 0
.LBB18_522:
	s_and_b64 vcc, exec, s[6:7]
	s_cbranch_vccz .LBB18_525
; %bb.523:
	s_cmp_eq_u32 s14, 29
	s_mov_b64 s[4:5], -1
	s_cbranch_scc0 .LBB18_525
; %bb.524:
	v_trunc_f32_e32 v4, v22
	v_mul_f32_e32 v5, 0x2f800000, v4
	v_floor_f32_e32 v6, v5
	v_fmac_f32_e32 v4, 0xcf800000, v6
	v_cvt_u32_f32_e32 v5, v6
	v_cvt_u32_f32_e32 v4, v4
	s_mov_b64 s[4:5], 0
	s_mov_b64 s[10:11], -1
	global_store_dwordx2 v[1:2], v[4:5], off
.LBB18_525:
	s_mov_b64 s[6:7], 0
.LBB18_526:
	s_and_b64 vcc, exec, s[6:7]
	s_cbranch_vccz .LBB18_542
; %bb.527:
	s_cmp_lt_i32 s14, 27
	s_mov_b64 s[6:7], -1
	s_cbranch_scc1 .LBB18_533
; %bb.528:
	v_cvt_u32_f32_e32 v4, v22
	s_cmp_gt_i32 s14, 27
	s_cbranch_scc0 .LBB18_530
; %bb.529:
	s_mov_b64 s[6:7], 0
	global_store_dword v[1:2], v4, off
.LBB18_530:
	s_andn2_b64 vcc, exec, s[6:7]
	s_cbranch_vccnz .LBB18_532
; %bb.531:
	global_store_short v[1:2], v4, off
.LBB18_532:
	s_mov_b64 s[6:7], 0
.LBB18_533:
	s_andn2_b64 vcc, exec, s[6:7]
	s_cbranch_vccnz .LBB18_541
; %bb.534:
	v_and_b32_e32 v4, 0x7fffffff, v22
	s_mov_b32 s6, 0x43800000
	v_cmp_gt_u32_e32 vcc, s6, v4
	v_mov_b32_e32 v5, 0x80
	s_and_saveexec_b64 s[6:7], vcc
	s_cbranch_execz .LBB18_540
; %bb.535:
	s_mov_b32 s10, 0x3bffffff
	v_cmp_lt_u32_e32 vcc, s10, v4
	s_mov_b64 s[10:11], 0
                                        ; implicit-def: $vgpr4
	s_and_saveexec_b64 s[12:13], vcc
	s_xor_b64 s[12:13], exec, s[12:13]
	s_cbranch_execz .LBB18_985
; %bb.536:
	v_bfe_u32 v4, v22, 20, 1
	s_mov_b32 s15, 0x487ffff
	v_add3_u32 v4, v22, v4, s15
	s_mov_b64 s[10:11], exec
	v_lshrrev_b32_e32 v4, 20, v4
	s_andn2_saveexec_b64 s[12:13], s[12:13]
	s_cbranch_execnz .LBB18_986
.LBB18_537:
	s_or_b64 exec, exec, s[12:13]
	v_mov_b32_e32 v5, 0
	s_and_saveexec_b64 s[12:13], s[10:11]
.LBB18_538:
	v_lshrrev_b32_e32 v5, 24, v22
	s_movk_i32 s10, 0x80
	v_and_or_b32 v5, v5, s10, v4
.LBB18_539:
	s_or_b64 exec, exec, s[12:13]
.LBB18_540:
	s_or_b64 exec, exec, s[6:7]
	global_store_byte v[1:2], v5, off
.LBB18_541:
	s_mov_b64 s[10:11], -1
.LBB18_542:
	s_mov_b64 s[6:7], 0
.LBB18_543:
	s_and_b64 vcc, exec, s[6:7]
	s_cbranch_vccz .LBB18_583
; %bb.544:
	s_cmp_gt_i32 s14, 22
	s_mov_b64 s[6:7], -1
	s_cbranch_scc0 .LBB18_576
; %bb.545:
	s_cmp_lt_i32 s14, 24
	s_cbranch_scc1 .LBB18_565
; %bb.546:
	s_cmp_gt_i32 s14, 24
	s_cbranch_scc0 .LBB18_554
; %bb.547:
	v_and_b32_e32 v4, 0x7fffffff, v22
	s_mov_b32 s6, 0x47800000
	v_cmp_gt_u32_e32 vcc, s6, v4
	v_mov_b32_e32 v5, 0x80
	s_and_saveexec_b64 s[6:7], vcc
	s_cbranch_execz .LBB18_553
; %bb.548:
	s_mov_b32 s8, 0x37ffffff
	v_cmp_lt_u32_e32 vcc, s8, v4
	s_mov_b64 s[8:9], 0
                                        ; implicit-def: $vgpr4
	s_and_saveexec_b64 s[10:11], vcc
	s_xor_b64 s[10:11], exec, s[10:11]
	s_cbranch_execz .LBB18_988
; %bb.549:
	v_bfe_u32 v4, v22, 21, 1
	s_mov_b32 s12, 0x88fffff
	v_add3_u32 v4, v22, v4, s12
	s_mov_b64 s[8:9], exec
	v_lshrrev_b32_e32 v4, 21, v4
	s_andn2_saveexec_b64 s[10:11], s[10:11]
	s_cbranch_execnz .LBB18_989
.LBB18_550:
	s_or_b64 exec, exec, s[10:11]
	v_mov_b32_e32 v5, 0
	s_and_saveexec_b64 s[10:11], s[8:9]
.LBB18_551:
	v_lshrrev_b32_e32 v5, 24, v22
	s_movk_i32 s8, 0x80
	v_and_or_b32 v5, v5, s8, v4
.LBB18_552:
	s_or_b64 exec, exec, s[10:11]
.LBB18_553:
	s_or_b64 exec, exec, s[6:7]
	s_mov_b64 s[6:7], 0
	global_store_byte v[1:2], v5, off
.LBB18_554:
	s_and_b64 vcc, exec, s[6:7]
	s_cbranch_vccz .LBB18_564
; %bb.555:
	v_and_b32_e32 v5, 0x7fffffff, v22
	s_mov_b32 s6, 0x43f00000
	v_cmp_gt_u32_e32 vcc, s6, v5
                                        ; implicit-def: $vgpr4
	s_and_saveexec_b64 s[6:7], vcc
	s_xor_b64 s[6:7], exec, s[6:7]
	s_cbranch_execz .LBB18_561
; %bb.556:
	s_mov_b32 s8, 0x3c7fffff
	v_cmp_lt_u32_e32 vcc, s8, v5
                                        ; implicit-def: $vgpr4
	s_and_saveexec_b64 s[8:9], vcc
	s_xor_b64 s[8:9], exec, s[8:9]
; %bb.557:
	v_bfe_u32 v4, v22, 20, 1
	s_mov_b32 s10, 0x407ffff
	v_add3_u32 v4, v22, v4, s10
	v_lshrrev_b32_e32 v5, 20, v4
	v_and_b32_e32 v4, 0xff00000, v4
	s_mov_b32 s10, 0x7f00000
	v_mov_b32_e32 v6, 0x7e
	v_cmp_ne_u32_e32 vcc, s10, v4
	v_cndmask_b32_e32 v4, v6, v5, vcc
; %bb.558:
	s_andn2_saveexec_b64 s[8:9], s[8:9]
; %bb.559:
	s_mov_b32 s10, 0x46800000
	v_add_f32_e64 v4, |v22|, s10
; %bb.560:
	s_or_b64 exec, exec, s[8:9]
                                        ; implicit-def: $vgpr5
.LBB18_561:
	s_andn2_saveexec_b64 s[6:7], s[6:7]
; %bb.562:
	s_mov_b32 s8, 0x7f800000
	v_mov_b32_e32 v4, 0x7e
	v_mov_b32_e32 v6, 0x7f
	v_cmp_lt_u32_e32 vcc, s8, v5
	v_cndmask_b32_e32 v4, v4, v6, vcc
; %bb.563:
	s_or_b64 exec, exec, s[6:7]
	v_lshrrev_b32_e32 v5, 24, v22
	s_movk_i32 s6, 0x80
	v_and_or_b32 v4, v5, s6, v4
	global_store_byte v[1:2], v4, off
.LBB18_564:
	s_mov_b64 s[6:7], 0
.LBB18_565:
	s_andn2_b64 vcc, exec, s[6:7]
	s_cbranch_vccnz .LBB18_575
; %bb.566:
	v_and_b32_e32 v5, 0x7fffffff, v22
	s_mov_b32 s6, 0x47800000
	v_cmp_gt_u32_e32 vcc, s6, v5
                                        ; implicit-def: $vgpr4
	s_and_saveexec_b64 s[6:7], vcc
	s_xor_b64 s[6:7], exec, s[6:7]
	s_cbranch_execz .LBB18_572
; %bb.567:
	s_mov_b32 s8, 0x387fffff
	v_cmp_lt_u32_e32 vcc, s8, v5
                                        ; implicit-def: $vgpr4
	s_and_saveexec_b64 s[8:9], vcc
	s_xor_b64 s[8:9], exec, s[8:9]
; %bb.568:
	v_bfe_u32 v4, v22, 21, 1
	s_mov_b32 s10, 0x80fffff
	v_add3_u32 v4, v22, v4, s10
	v_lshrrev_b32_e32 v4, 21, v4
; %bb.569:
	s_andn2_saveexec_b64 s[8:9], s[8:9]
; %bb.570:
	s_mov_b32 s10, 0x43000000
	v_add_f32_e64 v4, |v22|, s10
; %bb.571:
	s_or_b64 exec, exec, s[8:9]
                                        ; implicit-def: $vgpr5
.LBB18_572:
	s_andn2_saveexec_b64 s[6:7], s[6:7]
; %bb.573:
	s_mov_b32 s8, 0x7f800000
	v_mov_b32_e32 v4, 0x7c
	v_mov_b32_e32 v6, 0x7f
	v_cmp_lt_u32_e32 vcc, s8, v5
	v_cndmask_b32_e32 v4, v4, v6, vcc
; %bb.574:
	s_or_b64 exec, exec, s[6:7]
	v_lshrrev_b32_e32 v5, 24, v22
	s_movk_i32 s6, 0x80
	v_and_or_b32 v4, v5, s6, v4
	global_store_byte v[1:2], v4, off
.LBB18_575:
	s_mov_b64 s[6:7], 0
	s_mov_b64 s[10:11], -1
.LBB18_576:
	s_andn2_b64 vcc, exec, s[6:7]
	s_mov_b64 s[8:9], 0
	s_cbranch_vccnz .LBB18_583
; %bb.577:
	s_cmp_gt_i32 s14, 14
	s_mov_b64 s[6:7], -1
	s_cbranch_scc0 .LBB18_581
; %bb.578:
	s_cmp_eq_u32 s14, 15
	s_mov_b64 s[4:5], -1
	s_cbranch_scc0 .LBB18_580
; %bb.579:
	v_bfe_u32 v4, v22, 16, 1
	s_movk_i32 s4, 0x7fff
	v_add3_u32 v4, v22, v4, s4
	v_cmp_o_f32_e32 vcc, v22, v22
	v_mov_b32_e32 v5, 0x7fc0
	v_cndmask_b32_sdwa v4, v5, v4, vcc dst_sel:DWORD dst_unused:UNUSED_PAD src0_sel:DWORD src1_sel:WORD_1
	global_store_short v[1:2], v4, off
	s_mov_b64 s[4:5], 0
	s_mov_b64 s[10:11], -1
.LBB18_580:
	s_mov_b64 s[6:7], 0
.LBB18_581:
	s_and_b64 vcc, exec, s[6:7]
	s_cbranch_vccz .LBB18_583
; %bb.582:
	s_cmp_lg_u32 s14, 11
	s_mov_b64 s[8:9], -1
	s_cselect_b64 s[4:5], -1, 0
.LBB18_583:
	s_and_b64 vcc, exec, s[4:5]
	s_mov_b64 s[6:7], s[42:43]
	s_cbranch_vccnz .LBB18_987
; %bb.584:
	s_andn2_b64 vcc, exec, s[8:9]
	s_cbranch_vccnz .LBB18_586
.LBB18_585:
	v_cmp_neq_f32_e32 vcc, 0, v22
	v_cndmask_b32_e64 v4, 0, 1, vcc
	global_store_byte v[1:2], v4, off
	s_mov_b64 s[10:11], -1
.LBB18_586:
.LBB18_587:
	s_andn2_b64 vcc, exec, s[10:11]
	s_cbranch_vccz .LBB18_627
	s_branch .LBB18_939
.LBB18_588:
	s_mov_b64 s[10:11], 0
	s_mov_b64 s[6:7], s[42:43]
	s_cbranch_execz .LBB18_587
; %bb.589:
	s_and_b32 s8, 0xffff, s16
	s_cmp_lt_i32 s8, 5
	s_mov_b64 s[4:5], -1
	s_cbranch_scc1 .LBB18_610
; %bb.590:
	s_cmp_lt_i32 s8, 8
	s_cbranch_scc1 .LBB18_600
; %bb.591:
	s_cmp_lt_i32 s8, 9
	s_cbranch_scc1 .LBB18_597
; %bb.592:
	s_cmp_gt_i32 s8, 9
	s_cbranch_scc0 .LBB18_594
; %bb.593:
	v_cvt_f64_f32_e32 v[4:5], v22
	v_mov_b32_e32 v6, 0
	v_mov_b32_e32 v7, v6
	s_mov_b64 s[4:5], 0
	global_store_dwordx4 v[1:2], v[4:7], off
.LBB18_594:
	s_andn2_b64 vcc, exec, s[4:5]
	s_cbranch_vccnz .LBB18_596
; %bb.595:
	v_mov_b32_e32 v23, 0
	global_store_dwordx2 v[1:2], v[22:23], off
.LBB18_596:
	s_mov_b64 s[4:5], 0
.LBB18_597:
	s_andn2_b64 vcc, exec, s[4:5]
	s_cbranch_vccnz .LBB18_599
; %bb.598:
	v_cvt_f16_f32_e32 v4, v22
	global_store_dword v[1:2], v4, off
.LBB18_599:
	s_mov_b64 s[4:5], 0
.LBB18_600:
	s_andn2_b64 vcc, exec, s[4:5]
	s_cbranch_vccnz .LBB18_609
; %bb.601:
	s_cmp_lt_i32 s8, 6
	s_mov_b64 s[4:5], -1
	s_cbranch_scc1 .LBB18_607
; %bb.602:
	s_cmp_gt_i32 s8, 6
	s_cbranch_scc0 .LBB18_604
; %bb.603:
	v_cvt_f64_f32_e32 v[4:5], v22
	s_mov_b64 s[4:5], 0
	global_store_dwordx2 v[1:2], v[4:5], off
.LBB18_604:
	s_andn2_b64 vcc, exec, s[4:5]
	s_cbranch_vccnz .LBB18_606
; %bb.605:
	global_store_dword v[1:2], v22, off
.LBB18_606:
	s_mov_b64 s[4:5], 0
.LBB18_607:
	s_andn2_b64 vcc, exec, s[4:5]
	s_cbranch_vccnz .LBB18_609
; %bb.608:
	v_cvt_f16_f32_e32 v4, v22
	global_store_short v[1:2], v4, off
.LBB18_609:
	s_mov_b64 s[4:5], 0
.LBB18_610:
	s_andn2_b64 vcc, exec, s[4:5]
	s_cbranch_vccnz .LBB18_626
; %bb.611:
	s_cmp_lt_i32 s8, 2
	s_mov_b64 s[4:5], -1
	s_cbranch_scc1 .LBB18_621
; %bb.612:
	s_cmp_lt_i32 s8, 3
	s_cbranch_scc1 .LBB18_618
; %bb.613:
	s_cmp_gt_i32 s8, 3
	s_cbranch_scc0 .LBB18_615
; %bb.614:
	v_trunc_f32_e32 v4, v22
	s_mov_b32 s4, 0x2f800000
	v_mul_f32_e64 v5, |v4|, s4
	v_floor_f32_e32 v5, v5
	s_mov_b32 s4, 0xcf800000
	v_cvt_u32_f32_e32 v6, v5
	v_fma_f32 v5, v5, s4, |v4|
	v_cvt_u32_f32_e32 v5, v5
	v_ashrrev_i32_e32 v7, 31, v4
	v_xor_b32_e32 v6, v6, v7
	s_mov_b64 s[4:5], 0
	v_xor_b32_e32 v4, v5, v7
	v_sub_co_u32_e32 v4, vcc, v4, v7
	v_subb_co_u32_e32 v5, vcc, v6, v7, vcc
	global_store_dwordx2 v[1:2], v[4:5], off
.LBB18_615:
	s_andn2_b64 vcc, exec, s[4:5]
	s_cbranch_vccnz .LBB18_617
; %bb.616:
	v_cvt_i32_f32_e32 v4, v22
	global_store_dword v[1:2], v4, off
.LBB18_617:
	s_mov_b64 s[4:5], 0
.LBB18_618:
	s_andn2_b64 vcc, exec, s[4:5]
	s_cbranch_vccnz .LBB18_620
; %bb.619:
	v_cvt_i32_f32_e32 v4, v22
	global_store_short v[1:2], v4, off
.LBB18_620:
	s_mov_b64 s[4:5], 0
.LBB18_621:
	s_andn2_b64 vcc, exec, s[4:5]
	s_cbranch_vccnz .LBB18_626
; %bb.622:
	s_cmp_gt_i32 s8, 0
	s_mov_b64 s[4:5], -1
	s_cbranch_scc0 .LBB18_624
; %bb.623:
	v_cvt_i32_f32_e32 v4, v22
	s_mov_b64 s[4:5], 0
	global_store_byte v[1:2], v4, off
.LBB18_624:
	s_andn2_b64 vcc, exec, s[4:5]
	s_cbranch_vccnz .LBB18_626
; %bb.625:
	v_trunc_f32_e32 v4, v22
	s_mov_b32 s4, 0x2f800000
	v_mul_f32_e64 v5, |v4|, s4
	v_floor_f32_e32 v5, v5
	s_mov_b32 s4, 0xcf800000
	v_fma_f32 v5, v5, s4, |v4|
	v_cvt_u32_f32_e32 v5, v5
	v_ashrrev_i32_e32 v4, 31, v4
	v_xor_b32_e32 v5, v5, v4
	v_sub_u32_e32 v4, v5, v4
	global_store_byte v[1:2], v4, off
.LBB18_626:
.LBB18_627:
	s_lshl_b32 s17, s28, 7
	v_add_u32_e32 v3, s17, v3
	v_ashrrev_i32_e32 v2, 31, v3
	v_mov_b32_e32 v4, s37
	v_add_co_u32_e32 v1, vcc, s36, v3
	s_cmp_lt_i32 s16, 11
	v_addc_co_u32_e32 v2, vcc, v4, v2, vcc
	s_cbranch_scc1 .LBB18_706
; %bb.628:
	s_and_b32 s18, 0xffff, s16
	s_mov_b64 s[12:13], -1
	s_mov_b64 s[8:9], 0
	s_cmp_gt_i32 s18, 25
	s_mov_b64 s[10:11], 0
	s_mov_b64 s[4:5], 0
	s_cbranch_scc0 .LBB18_661
; %bb.629:
	s_cmp_gt_i32 s18, 28
	s_cbranch_scc0 .LBB18_644
; %bb.630:
	s_cmp_gt_i32 s18, 43
	;; [unrolled: 3-line block ×3, first 2 shown]
	s_cbranch_scc0 .LBB18_634
; %bb.632:
	s_mov_b64 s[4:5], -1
	s_mov_b64 s[12:13], 0
	s_cmp_eq_u32 s18, 46
	s_cbranch_scc0 .LBB18_634
; %bb.633:
	v_bfe_u32 v4, v21, 16, 1
	s_movk_i32 s4, 0x7fff
	v_add3_u32 v4, v21, v4, s4
	v_cmp_o_f32_e32 vcc, v21, v21
	v_mov_b32_e32 v5, 0x7fc0
	v_cndmask_b32_sdwa v4, v5, v4, vcc dst_sel:DWORD dst_unused:UNUSED_PAD src0_sel:DWORD src1_sel:WORD_1
	global_store_dword v[1:2], v4, off
	s_mov_b64 s[4:5], 0
	s_mov_b64 s[10:11], -1
.LBB18_634:
	s_and_b64 vcc, exec, s[12:13]
	s_cbranch_vccz .LBB18_639
; %bb.635:
	s_cmp_eq_u32 s18, 44
	s_mov_b64 s[4:5], -1
	s_cbranch_scc0 .LBB18_639
; %bb.636:
	v_bfe_u32 v4, v21, 23, 8
	s_movk_i32 s4, 0xff
	v_cmp_ne_u32_e32 vcc, s4, v4
	v_mov_b32_e32 v5, 0xff
	s_and_saveexec_b64 s[10:11], vcc
; %bb.637:
	s_mov_b32 s4, 0x3fffff
	v_and_b32_e32 v6, 0x400000, v21
	v_and_or_b32 v4, v21, s4, v4
	v_cmp_ne_u32_e32 vcc, 0, v6
	v_cmp_ne_u32_e64 s[4:5], 0, v4
	s_and_b64 s[4:5], vcc, s[4:5]
	v_lshrrev_b32_e32 v5, 23, v21
	v_cndmask_b32_e64 v4, 0, 1, s[4:5]
	v_add_u32_e32 v5, v5, v4
; %bb.638:
	s_or_b64 exec, exec, s[10:11]
	s_mov_b64 s[4:5], 0
	s_mov_b64 s[10:11], -1
	global_store_byte v[1:2], v5, off
.LBB18_639:
	s_mov_b64 s[12:13], 0
.LBB18_640:
	s_and_b64 vcc, exec, s[12:13]
	s_cbranch_vccz .LBB18_643
; %bb.641:
	s_cmp_eq_u32 s18, 29
	s_mov_b64 s[4:5], -1
	s_cbranch_scc0 .LBB18_643
; %bb.642:
	v_trunc_f32_e32 v4, v21
	v_mul_f32_e32 v5, 0x2f800000, v4
	v_floor_f32_e32 v6, v5
	v_fmac_f32_e32 v4, 0xcf800000, v6
	v_cvt_u32_f32_e32 v5, v6
	v_cvt_u32_f32_e32 v4, v4
	s_mov_b64 s[4:5], 0
	s_mov_b64 s[10:11], -1
	global_store_dwordx2 v[1:2], v[4:5], off
.LBB18_643:
	s_mov_b64 s[12:13], 0
.LBB18_644:
	s_and_b64 vcc, exec, s[12:13]
	s_cbranch_vccz .LBB18_660
; %bb.645:
	s_cmp_lt_i32 s18, 27
	s_mov_b64 s[10:11], -1
	s_cbranch_scc1 .LBB18_651
; %bb.646:
	v_cvt_u32_f32_e32 v4, v21
	s_cmp_gt_i32 s18, 27
	s_cbranch_scc0 .LBB18_648
; %bb.647:
	s_mov_b64 s[10:11], 0
	global_store_dword v[1:2], v4, off
.LBB18_648:
	s_andn2_b64 vcc, exec, s[10:11]
	s_cbranch_vccnz .LBB18_650
; %bb.649:
	global_store_short v[1:2], v4, off
.LBB18_650:
	s_mov_b64 s[10:11], 0
.LBB18_651:
	s_andn2_b64 vcc, exec, s[10:11]
	s_cbranch_vccnz .LBB18_659
; %bb.652:
	v_and_b32_e32 v4, 0x7fffffff, v21
	s_mov_b32 s10, 0x43800000
	v_cmp_gt_u32_e32 vcc, s10, v4
	v_mov_b32_e32 v5, 0x80
	s_and_saveexec_b64 s[10:11], vcc
	s_cbranch_execz .LBB18_658
; %bb.653:
	s_mov_b32 s12, 0x3bffffff
	v_cmp_lt_u32_e32 vcc, s12, v4
	s_mov_b64 s[12:13], 0
                                        ; implicit-def: $vgpr4
	s_and_saveexec_b64 s[14:15], vcc
	s_xor_b64 s[14:15], exec, s[14:15]
	s_cbranch_execz .LBB18_990
; %bb.654:
	v_bfe_u32 v4, v21, 20, 1
	s_mov_b32 s19, 0x487ffff
	v_add3_u32 v4, v21, v4, s19
	s_mov_b64 s[12:13], exec
	v_lshrrev_b32_e32 v4, 20, v4
	s_andn2_saveexec_b64 s[14:15], s[14:15]
	s_cbranch_execnz .LBB18_991
.LBB18_655:
	s_or_b64 exec, exec, s[14:15]
	v_mov_b32_e32 v5, 0
	s_and_saveexec_b64 s[14:15], s[12:13]
.LBB18_656:
	v_lshrrev_b32_e32 v5, 24, v21
	s_movk_i32 s12, 0x80
	v_and_or_b32 v5, v5, s12, v4
.LBB18_657:
	s_or_b64 exec, exec, s[14:15]
.LBB18_658:
	s_or_b64 exec, exec, s[10:11]
	global_store_byte v[1:2], v5, off
.LBB18_659:
	s_mov_b64 s[10:11], -1
.LBB18_660:
	s_mov_b64 s[12:13], 0
.LBB18_661:
	s_and_b64 vcc, exec, s[12:13]
	s_cbranch_vccz .LBB18_701
; %bb.662:
	s_cmp_gt_i32 s18, 22
	s_mov_b64 s[8:9], -1
	s_cbranch_scc0 .LBB18_694
; %bb.663:
	s_cmp_lt_i32 s18, 24
	s_cbranch_scc1 .LBB18_683
; %bb.664:
	s_cmp_gt_i32 s18, 24
	s_cbranch_scc0 .LBB18_672
; %bb.665:
	v_and_b32_e32 v4, 0x7fffffff, v21
	s_mov_b32 s8, 0x47800000
	v_cmp_gt_u32_e32 vcc, s8, v4
	v_mov_b32_e32 v5, 0x80
	s_and_saveexec_b64 s[8:9], vcc
	s_cbranch_execz .LBB18_671
; %bb.666:
	s_mov_b32 s10, 0x37ffffff
	v_cmp_lt_u32_e32 vcc, s10, v4
	s_mov_b64 s[10:11], 0
                                        ; implicit-def: $vgpr4
	s_and_saveexec_b64 s[12:13], vcc
	s_xor_b64 s[12:13], exec, s[12:13]
	s_cbranch_execz .LBB18_993
; %bb.667:
	v_bfe_u32 v4, v21, 21, 1
	s_mov_b32 s14, 0x88fffff
	v_add3_u32 v4, v21, v4, s14
	s_mov_b64 s[10:11], exec
	v_lshrrev_b32_e32 v4, 21, v4
	s_andn2_saveexec_b64 s[12:13], s[12:13]
	s_cbranch_execnz .LBB18_994
.LBB18_668:
	s_or_b64 exec, exec, s[12:13]
	v_mov_b32_e32 v5, 0
	s_and_saveexec_b64 s[12:13], s[10:11]
.LBB18_669:
	v_lshrrev_b32_e32 v5, 24, v21
	s_movk_i32 s10, 0x80
	v_and_or_b32 v5, v5, s10, v4
.LBB18_670:
	s_or_b64 exec, exec, s[12:13]
.LBB18_671:
	s_or_b64 exec, exec, s[8:9]
	s_mov_b64 s[8:9], 0
	global_store_byte v[1:2], v5, off
.LBB18_672:
	s_and_b64 vcc, exec, s[8:9]
	s_cbranch_vccz .LBB18_682
; %bb.673:
	v_and_b32_e32 v5, 0x7fffffff, v21
	s_mov_b32 s8, 0x43f00000
	v_cmp_gt_u32_e32 vcc, s8, v5
                                        ; implicit-def: $vgpr4
	s_and_saveexec_b64 s[8:9], vcc
	s_xor_b64 s[8:9], exec, s[8:9]
	s_cbranch_execz .LBB18_679
; %bb.674:
	s_mov_b32 s10, 0x3c7fffff
	v_cmp_lt_u32_e32 vcc, s10, v5
                                        ; implicit-def: $vgpr4
	s_and_saveexec_b64 s[10:11], vcc
	s_xor_b64 s[10:11], exec, s[10:11]
; %bb.675:
	v_bfe_u32 v4, v21, 20, 1
	s_mov_b32 s12, 0x407ffff
	v_add3_u32 v4, v21, v4, s12
	v_lshrrev_b32_e32 v5, 20, v4
	v_and_b32_e32 v4, 0xff00000, v4
	s_mov_b32 s12, 0x7f00000
	v_mov_b32_e32 v6, 0x7e
	v_cmp_ne_u32_e32 vcc, s12, v4
	v_cndmask_b32_e32 v4, v6, v5, vcc
; %bb.676:
	s_andn2_saveexec_b64 s[10:11], s[10:11]
; %bb.677:
	s_mov_b32 s12, 0x46800000
	v_add_f32_e64 v4, |v21|, s12
; %bb.678:
	s_or_b64 exec, exec, s[10:11]
                                        ; implicit-def: $vgpr5
.LBB18_679:
	s_andn2_saveexec_b64 s[8:9], s[8:9]
; %bb.680:
	s_mov_b32 s10, 0x7f800000
	v_mov_b32_e32 v4, 0x7e
	v_mov_b32_e32 v6, 0x7f
	v_cmp_lt_u32_e32 vcc, s10, v5
	v_cndmask_b32_e32 v4, v4, v6, vcc
; %bb.681:
	s_or_b64 exec, exec, s[8:9]
	v_lshrrev_b32_e32 v5, 24, v21
	s_movk_i32 s8, 0x80
	v_and_or_b32 v4, v5, s8, v4
	global_store_byte v[1:2], v4, off
.LBB18_682:
	s_mov_b64 s[8:9], 0
.LBB18_683:
	s_andn2_b64 vcc, exec, s[8:9]
	s_cbranch_vccnz .LBB18_693
; %bb.684:
	v_and_b32_e32 v5, 0x7fffffff, v21
	s_mov_b32 s8, 0x47800000
	v_cmp_gt_u32_e32 vcc, s8, v5
                                        ; implicit-def: $vgpr4
	s_and_saveexec_b64 s[8:9], vcc
	s_xor_b64 s[8:9], exec, s[8:9]
	s_cbranch_execz .LBB18_690
; %bb.685:
	s_mov_b32 s10, 0x387fffff
	v_cmp_lt_u32_e32 vcc, s10, v5
                                        ; implicit-def: $vgpr4
	s_and_saveexec_b64 s[10:11], vcc
	s_xor_b64 s[10:11], exec, s[10:11]
; %bb.686:
	v_bfe_u32 v4, v21, 21, 1
	s_mov_b32 s12, 0x80fffff
	v_add3_u32 v4, v21, v4, s12
	v_lshrrev_b32_e32 v4, 21, v4
; %bb.687:
	s_andn2_saveexec_b64 s[10:11], s[10:11]
; %bb.688:
	s_mov_b32 s12, 0x43000000
	v_add_f32_e64 v4, |v21|, s12
; %bb.689:
	s_or_b64 exec, exec, s[10:11]
                                        ; implicit-def: $vgpr5
.LBB18_690:
	s_andn2_saveexec_b64 s[8:9], s[8:9]
; %bb.691:
	s_mov_b32 s10, 0x7f800000
	v_mov_b32_e32 v4, 0x7c
	v_mov_b32_e32 v6, 0x7f
	v_cmp_lt_u32_e32 vcc, s10, v5
	v_cndmask_b32_e32 v4, v4, v6, vcc
; %bb.692:
	s_or_b64 exec, exec, s[8:9]
	v_lshrrev_b32_e32 v5, 24, v21
	s_movk_i32 s8, 0x80
	v_and_or_b32 v4, v5, s8, v4
	global_store_byte v[1:2], v4, off
.LBB18_693:
	s_mov_b64 s[8:9], 0
	s_mov_b64 s[10:11], -1
.LBB18_694:
	s_andn2_b64 vcc, exec, s[8:9]
	s_mov_b64 s[8:9], 0
	s_cbranch_vccnz .LBB18_701
; %bb.695:
	s_cmp_gt_i32 s18, 14
	s_mov_b64 s[12:13], -1
	s_cbranch_scc0 .LBB18_699
; %bb.696:
	s_cmp_eq_u32 s18, 15
	s_mov_b64 s[4:5], -1
	s_cbranch_scc0 .LBB18_698
; %bb.697:
	v_bfe_u32 v4, v21, 16, 1
	s_movk_i32 s4, 0x7fff
	v_add3_u32 v4, v21, v4, s4
	v_cmp_o_f32_e32 vcc, v21, v21
	v_mov_b32_e32 v5, 0x7fc0
	v_cndmask_b32_sdwa v4, v5, v4, vcc dst_sel:DWORD dst_unused:UNUSED_PAD src0_sel:DWORD src1_sel:WORD_1
	global_store_short v[1:2], v4, off
	s_mov_b64 s[4:5], 0
	s_mov_b64 s[10:11], -1
.LBB18_698:
	s_mov_b64 s[12:13], 0
.LBB18_699:
	s_and_b64 vcc, exec, s[12:13]
	s_cbranch_vccz .LBB18_701
; %bb.700:
	s_cmp_lg_u32 s18, 11
	s_mov_b64 s[8:9], -1
	s_cselect_b64 s[4:5], -1, 0
.LBB18_701:
	s_and_b64 vcc, exec, s[4:5]
	s_cbranch_vccnz .LBB18_992
; %bb.702:
	s_andn2_b64 vcc, exec, s[8:9]
	s_cbranch_vccnz .LBB18_704
.LBB18_703:
	v_cmp_neq_f32_e32 vcc, 0, v21
	v_cndmask_b32_e64 v4, 0, 1, vcc
	s_mov_b64 s[10:11], -1
	global_store_byte v[1:2], v4, off
.LBB18_704:
.LBB18_705:
	s_andn2_b64 vcc, exec, s[10:11]
	s_cbranch_vccz .LBB18_745
	s_branch .LBB18_939
.LBB18_706:
	s_mov_b64 s[10:11], 0
	s_cbranch_execz .LBB18_705
; %bb.707:
	s_and_b32 s8, 0xffff, s16
	s_cmp_lt_i32 s8, 5
	s_mov_b64 s[4:5], -1
	s_cbranch_scc1 .LBB18_728
; %bb.708:
	s_cmp_lt_i32 s8, 8
	s_cbranch_scc1 .LBB18_718
; %bb.709:
	s_cmp_lt_i32 s8, 9
	s_cbranch_scc1 .LBB18_715
; %bb.710:
	s_cmp_gt_i32 s8, 9
	s_cbranch_scc0 .LBB18_712
; %bb.711:
	v_cvt_f64_f32_e32 v[4:5], v21
	v_mov_b32_e32 v6, 0
	v_mov_b32_e32 v7, v6
	s_mov_b64 s[4:5], 0
	global_store_dwordx4 v[1:2], v[4:7], off
.LBB18_712:
	s_andn2_b64 vcc, exec, s[4:5]
	s_cbranch_vccnz .LBB18_714
; %bb.713:
	v_mov_b32_e32 v22, 0
	global_store_dwordx2 v[1:2], v[21:22], off
.LBB18_714:
	s_mov_b64 s[4:5], 0
.LBB18_715:
	s_andn2_b64 vcc, exec, s[4:5]
	s_cbranch_vccnz .LBB18_717
; %bb.716:
	v_cvt_f16_f32_e32 v4, v21
	global_store_dword v[1:2], v4, off
.LBB18_717:
	s_mov_b64 s[4:5], 0
.LBB18_718:
	s_andn2_b64 vcc, exec, s[4:5]
	s_cbranch_vccnz .LBB18_727
; %bb.719:
	s_cmp_lt_i32 s8, 6
	s_mov_b64 s[4:5], -1
	s_cbranch_scc1 .LBB18_725
; %bb.720:
	s_cmp_gt_i32 s8, 6
	s_cbranch_scc0 .LBB18_722
; %bb.721:
	v_cvt_f64_f32_e32 v[4:5], v21
	s_mov_b64 s[4:5], 0
	global_store_dwordx2 v[1:2], v[4:5], off
.LBB18_722:
	s_andn2_b64 vcc, exec, s[4:5]
	s_cbranch_vccnz .LBB18_724
; %bb.723:
	global_store_dword v[1:2], v21, off
.LBB18_724:
	s_mov_b64 s[4:5], 0
.LBB18_725:
	s_andn2_b64 vcc, exec, s[4:5]
	s_cbranch_vccnz .LBB18_727
; %bb.726:
	v_cvt_f16_f32_e32 v4, v21
	global_store_short v[1:2], v4, off
.LBB18_727:
	s_mov_b64 s[4:5], 0
.LBB18_728:
	s_andn2_b64 vcc, exec, s[4:5]
	s_cbranch_vccnz .LBB18_744
; %bb.729:
	s_cmp_lt_i32 s8, 2
	s_mov_b64 s[4:5], -1
	s_cbranch_scc1 .LBB18_739
; %bb.730:
	s_cmp_lt_i32 s8, 3
	s_cbranch_scc1 .LBB18_736
; %bb.731:
	s_cmp_gt_i32 s8, 3
	s_cbranch_scc0 .LBB18_733
; %bb.732:
	v_trunc_f32_e32 v4, v21
	s_mov_b32 s4, 0x2f800000
	v_mul_f32_e64 v5, |v4|, s4
	v_floor_f32_e32 v5, v5
	s_mov_b32 s4, 0xcf800000
	v_cvt_u32_f32_e32 v6, v5
	v_fma_f32 v5, v5, s4, |v4|
	v_cvt_u32_f32_e32 v5, v5
	v_ashrrev_i32_e32 v7, 31, v4
	v_xor_b32_e32 v6, v6, v7
	s_mov_b64 s[4:5], 0
	v_xor_b32_e32 v4, v5, v7
	v_sub_co_u32_e32 v4, vcc, v4, v7
	v_subb_co_u32_e32 v5, vcc, v6, v7, vcc
	global_store_dwordx2 v[1:2], v[4:5], off
.LBB18_733:
	s_andn2_b64 vcc, exec, s[4:5]
	s_cbranch_vccnz .LBB18_735
; %bb.734:
	v_cvt_i32_f32_e32 v4, v21
	global_store_dword v[1:2], v4, off
.LBB18_735:
	s_mov_b64 s[4:5], 0
.LBB18_736:
	s_andn2_b64 vcc, exec, s[4:5]
	s_cbranch_vccnz .LBB18_738
; %bb.737:
	v_cvt_i32_f32_e32 v4, v21
	global_store_short v[1:2], v4, off
.LBB18_738:
	s_mov_b64 s[4:5], 0
.LBB18_739:
	s_andn2_b64 vcc, exec, s[4:5]
	s_cbranch_vccnz .LBB18_744
; %bb.740:
	s_cmp_gt_i32 s8, 0
	s_mov_b64 s[4:5], -1
	s_cbranch_scc0 .LBB18_742
; %bb.741:
	v_cvt_i32_f32_e32 v4, v21
	s_mov_b64 s[4:5], 0
	global_store_byte v[1:2], v4, off
.LBB18_742:
	s_andn2_b64 vcc, exec, s[4:5]
	s_cbranch_vccnz .LBB18_744
; %bb.743:
	v_trunc_f32_e32 v4, v21
	s_mov_b32 s4, 0x2f800000
	v_mul_f32_e64 v5, |v4|, s4
	v_floor_f32_e32 v5, v5
	s_mov_b32 s4, 0xcf800000
	v_fma_f32 v5, v5, s4, |v4|
	v_cvt_u32_f32_e32 v5, v5
	v_ashrrev_i32_e32 v4, 31, v4
	v_xor_b32_e32 v5, v5, v4
	v_sub_u32_e32 v4, v5, v4
	global_store_byte v[1:2], v4, off
.LBB18_744:
.LBB18_745:
	v_add_u32_e32 v3, s17, v3
	v_ashrrev_i32_e32 v2, 31, v3
	v_mov_b32_e32 v4, s37
	v_add_co_u32_e32 v1, vcc, s36, v3
	s_cmp_lt_i32 s16, 11
	v_addc_co_u32_e32 v2, vcc, v4, v2, vcc
	s_cbranch_scc1 .LBB18_900
; %bb.746:
	s_and_b32 s18, 0xffff, s16
	s_mov_b64 s[12:13], -1
	s_mov_b64 s[8:9], 0
	s_cmp_gt_i32 s18, 25
	s_mov_b64 s[10:11], 0
	s_mov_b64 s[4:5], 0
	s_cbranch_scc0 .LBB18_779
; %bb.747:
	s_cmp_gt_i32 s18, 28
	s_cbranch_scc0 .LBB18_762
; %bb.748:
	s_cmp_gt_i32 s18, 43
	;; [unrolled: 3-line block ×3, first 2 shown]
	s_cbranch_scc0 .LBB18_752
; %bb.750:
	s_mov_b64 s[4:5], -1
	s_mov_b64 s[12:13], 0
	s_cmp_eq_u32 s18, 46
	s_cbranch_scc0 .LBB18_752
; %bb.751:
	v_bfe_u32 v4, v20, 16, 1
	s_movk_i32 s4, 0x7fff
	v_add3_u32 v4, v20, v4, s4
	v_cmp_o_f32_e32 vcc, v20, v20
	v_mov_b32_e32 v5, 0x7fc0
	v_cndmask_b32_sdwa v4, v5, v4, vcc dst_sel:DWORD dst_unused:UNUSED_PAD src0_sel:DWORD src1_sel:WORD_1
	global_store_dword v[1:2], v4, off
	s_mov_b64 s[4:5], 0
	s_mov_b64 s[10:11], -1
.LBB18_752:
	s_and_b64 vcc, exec, s[12:13]
	s_cbranch_vccz .LBB18_757
; %bb.753:
	s_cmp_eq_u32 s18, 44
	s_mov_b64 s[4:5], -1
	s_cbranch_scc0 .LBB18_757
; %bb.754:
	v_bfe_u32 v4, v20, 23, 8
	s_movk_i32 s4, 0xff
	v_cmp_ne_u32_e32 vcc, s4, v4
	v_mov_b32_e32 v5, 0xff
	s_and_saveexec_b64 s[10:11], vcc
; %bb.755:
	s_mov_b32 s4, 0x3fffff
	v_and_b32_e32 v6, 0x400000, v20
	v_and_or_b32 v4, v20, s4, v4
	v_cmp_ne_u32_e32 vcc, 0, v6
	v_cmp_ne_u32_e64 s[4:5], 0, v4
	s_and_b64 s[4:5], vcc, s[4:5]
	v_lshrrev_b32_e32 v5, 23, v20
	v_cndmask_b32_e64 v4, 0, 1, s[4:5]
	v_add_u32_e32 v5, v5, v4
; %bb.756:
	s_or_b64 exec, exec, s[10:11]
	s_mov_b64 s[4:5], 0
	s_mov_b64 s[10:11], -1
	global_store_byte v[1:2], v5, off
.LBB18_757:
	s_mov_b64 s[12:13], 0
.LBB18_758:
	s_and_b64 vcc, exec, s[12:13]
	s_cbranch_vccz .LBB18_761
; %bb.759:
	s_cmp_eq_u32 s18, 29
	s_mov_b64 s[4:5], -1
	s_cbranch_scc0 .LBB18_761
; %bb.760:
	v_trunc_f32_e32 v4, v20
	v_mul_f32_e32 v5, 0x2f800000, v4
	v_floor_f32_e32 v6, v5
	v_fmac_f32_e32 v4, 0xcf800000, v6
	v_cvt_u32_f32_e32 v5, v6
	v_cvt_u32_f32_e32 v4, v4
	s_mov_b64 s[4:5], 0
	s_mov_b64 s[10:11], -1
	global_store_dwordx2 v[1:2], v[4:5], off
.LBB18_761:
	s_mov_b64 s[12:13], 0
.LBB18_762:
	s_and_b64 vcc, exec, s[12:13]
	s_cbranch_vccz .LBB18_778
; %bb.763:
	s_cmp_lt_i32 s18, 27
	s_mov_b64 s[10:11], -1
	s_cbranch_scc1 .LBB18_769
; %bb.764:
	v_cvt_u32_f32_e32 v4, v20
	s_cmp_gt_i32 s18, 27
	s_cbranch_scc0 .LBB18_766
; %bb.765:
	s_mov_b64 s[10:11], 0
	global_store_dword v[1:2], v4, off
.LBB18_766:
	s_andn2_b64 vcc, exec, s[10:11]
	s_cbranch_vccnz .LBB18_768
; %bb.767:
	global_store_short v[1:2], v4, off
.LBB18_768:
	s_mov_b64 s[10:11], 0
.LBB18_769:
	s_andn2_b64 vcc, exec, s[10:11]
	s_cbranch_vccnz .LBB18_777
; %bb.770:
	v_and_b32_e32 v4, 0x7fffffff, v20
	s_mov_b32 s10, 0x43800000
	v_cmp_gt_u32_e32 vcc, s10, v4
	v_mov_b32_e32 v5, 0x80
	s_and_saveexec_b64 s[10:11], vcc
	s_cbranch_execz .LBB18_776
; %bb.771:
	s_mov_b32 s12, 0x3bffffff
	v_cmp_lt_u32_e32 vcc, s12, v4
	s_mov_b64 s[12:13], 0
                                        ; implicit-def: $vgpr4
	s_and_saveexec_b64 s[14:15], vcc
	s_xor_b64 s[14:15], exec, s[14:15]
	s_cbranch_execz .LBB18_995
; %bb.772:
	v_bfe_u32 v4, v20, 20, 1
	s_mov_b32 s19, 0x487ffff
	v_add3_u32 v4, v20, v4, s19
	s_mov_b64 s[12:13], exec
	v_lshrrev_b32_e32 v4, 20, v4
	s_andn2_saveexec_b64 s[14:15], s[14:15]
	s_cbranch_execnz .LBB18_996
.LBB18_773:
	s_or_b64 exec, exec, s[14:15]
	v_mov_b32_e32 v5, 0
	s_and_saveexec_b64 s[14:15], s[12:13]
.LBB18_774:
	v_lshrrev_b32_e32 v5, 24, v20
	s_movk_i32 s12, 0x80
	v_and_or_b32 v5, v5, s12, v4
.LBB18_775:
	s_or_b64 exec, exec, s[14:15]
.LBB18_776:
	s_or_b64 exec, exec, s[10:11]
	global_store_byte v[1:2], v5, off
.LBB18_777:
	s_mov_b64 s[10:11], -1
.LBB18_778:
	s_mov_b64 s[12:13], 0
.LBB18_779:
	s_and_b64 vcc, exec, s[12:13]
	s_cbranch_vccz .LBB18_819
; %bb.780:
	s_cmp_gt_i32 s18, 22
	s_mov_b64 s[8:9], -1
	s_cbranch_scc0 .LBB18_812
; %bb.781:
	s_cmp_lt_i32 s18, 24
	s_cbranch_scc1 .LBB18_801
; %bb.782:
	s_cmp_gt_i32 s18, 24
	s_cbranch_scc0 .LBB18_790
; %bb.783:
	v_and_b32_e32 v4, 0x7fffffff, v20
	s_mov_b32 s8, 0x47800000
	v_cmp_gt_u32_e32 vcc, s8, v4
	v_mov_b32_e32 v5, 0x80
	s_and_saveexec_b64 s[8:9], vcc
	s_cbranch_execz .LBB18_789
; %bb.784:
	s_mov_b32 s10, 0x37ffffff
	v_cmp_lt_u32_e32 vcc, s10, v4
	s_mov_b64 s[10:11], 0
                                        ; implicit-def: $vgpr4
	s_and_saveexec_b64 s[12:13], vcc
	s_xor_b64 s[12:13], exec, s[12:13]
	s_cbranch_execz .LBB18_1000
; %bb.785:
	v_bfe_u32 v4, v20, 21, 1
	s_mov_b32 s14, 0x88fffff
	v_add3_u32 v4, v20, v4, s14
	s_mov_b64 s[10:11], exec
	v_lshrrev_b32_e32 v4, 21, v4
	s_andn2_saveexec_b64 s[12:13], s[12:13]
	s_cbranch_execnz .LBB18_1001
.LBB18_786:
	s_or_b64 exec, exec, s[12:13]
	v_mov_b32_e32 v5, 0
	s_and_saveexec_b64 s[12:13], s[10:11]
.LBB18_787:
	v_lshrrev_b32_e32 v5, 24, v20
	s_movk_i32 s10, 0x80
	v_and_or_b32 v5, v5, s10, v4
.LBB18_788:
	s_or_b64 exec, exec, s[12:13]
.LBB18_789:
	s_or_b64 exec, exec, s[8:9]
	s_mov_b64 s[8:9], 0
	global_store_byte v[1:2], v5, off
.LBB18_790:
	s_and_b64 vcc, exec, s[8:9]
	s_cbranch_vccz .LBB18_800
; %bb.791:
	v_and_b32_e32 v5, 0x7fffffff, v20
	s_mov_b32 s8, 0x43f00000
	v_cmp_gt_u32_e32 vcc, s8, v5
                                        ; implicit-def: $vgpr4
	s_and_saveexec_b64 s[8:9], vcc
	s_xor_b64 s[8:9], exec, s[8:9]
	s_cbranch_execz .LBB18_797
; %bb.792:
	s_mov_b32 s10, 0x3c7fffff
	v_cmp_lt_u32_e32 vcc, s10, v5
                                        ; implicit-def: $vgpr4
	s_and_saveexec_b64 s[10:11], vcc
	s_xor_b64 s[10:11], exec, s[10:11]
; %bb.793:
	v_bfe_u32 v4, v20, 20, 1
	s_mov_b32 s12, 0x407ffff
	v_add3_u32 v4, v20, v4, s12
	v_lshrrev_b32_e32 v5, 20, v4
	v_and_b32_e32 v4, 0xff00000, v4
	s_mov_b32 s12, 0x7f00000
	v_mov_b32_e32 v6, 0x7e
	v_cmp_ne_u32_e32 vcc, s12, v4
	v_cndmask_b32_e32 v4, v6, v5, vcc
; %bb.794:
	s_andn2_saveexec_b64 s[10:11], s[10:11]
; %bb.795:
	s_mov_b32 s12, 0x46800000
	v_add_f32_e64 v4, |v20|, s12
; %bb.796:
	s_or_b64 exec, exec, s[10:11]
                                        ; implicit-def: $vgpr5
.LBB18_797:
	s_andn2_saveexec_b64 s[8:9], s[8:9]
; %bb.798:
	s_mov_b32 s10, 0x7f800000
	v_mov_b32_e32 v4, 0x7e
	v_mov_b32_e32 v6, 0x7f
	v_cmp_lt_u32_e32 vcc, s10, v5
	v_cndmask_b32_e32 v4, v4, v6, vcc
; %bb.799:
	s_or_b64 exec, exec, s[8:9]
	v_lshrrev_b32_e32 v5, 24, v20
	s_movk_i32 s8, 0x80
	v_and_or_b32 v4, v5, s8, v4
	global_store_byte v[1:2], v4, off
.LBB18_800:
	s_mov_b64 s[8:9], 0
.LBB18_801:
	s_andn2_b64 vcc, exec, s[8:9]
	s_cbranch_vccnz .LBB18_811
; %bb.802:
	v_and_b32_e32 v5, 0x7fffffff, v20
	s_mov_b32 s8, 0x47800000
	v_cmp_gt_u32_e32 vcc, s8, v5
                                        ; implicit-def: $vgpr4
	s_and_saveexec_b64 s[8:9], vcc
	s_xor_b64 s[8:9], exec, s[8:9]
	s_cbranch_execz .LBB18_808
; %bb.803:
	s_mov_b32 s10, 0x387fffff
	v_cmp_lt_u32_e32 vcc, s10, v5
                                        ; implicit-def: $vgpr4
	s_and_saveexec_b64 s[10:11], vcc
	s_xor_b64 s[10:11], exec, s[10:11]
; %bb.804:
	v_bfe_u32 v4, v20, 21, 1
	s_mov_b32 s12, 0x80fffff
	v_add3_u32 v4, v20, v4, s12
	v_lshrrev_b32_e32 v4, 21, v4
; %bb.805:
	s_andn2_saveexec_b64 s[10:11], s[10:11]
; %bb.806:
	s_mov_b32 s12, 0x43000000
	v_add_f32_e64 v4, |v20|, s12
; %bb.807:
	s_or_b64 exec, exec, s[10:11]
                                        ; implicit-def: $vgpr5
.LBB18_808:
	s_andn2_saveexec_b64 s[8:9], s[8:9]
; %bb.809:
	s_mov_b32 s10, 0x7f800000
	v_mov_b32_e32 v4, 0x7c
	v_mov_b32_e32 v6, 0x7f
	v_cmp_lt_u32_e32 vcc, s10, v5
	v_cndmask_b32_e32 v4, v4, v6, vcc
; %bb.810:
	s_or_b64 exec, exec, s[8:9]
	v_lshrrev_b32_e32 v5, 24, v20
	s_movk_i32 s8, 0x80
	v_and_or_b32 v4, v5, s8, v4
	global_store_byte v[1:2], v4, off
.LBB18_811:
	s_mov_b64 s[8:9], 0
	s_mov_b64 s[10:11], -1
.LBB18_812:
	s_andn2_b64 vcc, exec, s[8:9]
	s_mov_b64 s[8:9], 0
	s_cbranch_vccnz .LBB18_819
; %bb.813:
	s_cmp_gt_i32 s18, 14
	s_mov_b64 s[12:13], -1
	s_cbranch_scc0 .LBB18_817
; %bb.814:
	s_cmp_eq_u32 s18, 15
	s_mov_b64 s[4:5], -1
	s_cbranch_scc0 .LBB18_816
; %bb.815:
	v_bfe_u32 v4, v20, 16, 1
	s_movk_i32 s4, 0x7fff
	v_add3_u32 v4, v20, v4, s4
	v_cmp_o_f32_e32 vcc, v20, v20
	v_mov_b32_e32 v5, 0x7fc0
	v_cndmask_b32_sdwa v4, v5, v4, vcc dst_sel:DWORD dst_unused:UNUSED_PAD src0_sel:DWORD src1_sel:WORD_1
	global_store_short v[1:2], v4, off
	s_mov_b64 s[4:5], 0
	s_mov_b64 s[10:11], -1
.LBB18_816:
	s_mov_b64 s[12:13], 0
.LBB18_817:
	s_and_b64 vcc, exec, s[12:13]
	s_cbranch_vccz .LBB18_819
; %bb.818:
	s_cmp_lg_u32 s18, 11
	s_mov_b64 s[8:9], -1
	s_cselect_b64 s[4:5], -1, 0
.LBB18_819:
	s_and_b64 vcc, exec, s[4:5]
	s_cbranch_vccnz .LBB18_997
; %bb.820:
	s_andn2_b64 vcc, exec, s[8:9]
	s_cbranch_vccnz .LBB18_822
.LBB18_821:
	v_cmp_neq_f32_e32 vcc, 0, v20
	v_cndmask_b32_e64 v4, 0, 1, vcc
	s_mov_b64 s[10:11], -1
	global_store_byte v[1:2], v4, off
.LBB18_822:
.LBB18_823:
	s_andn2_b64 vcc, exec, s[10:11]
	s_cbranch_vccnz .LBB18_939
.LBB18_824:
	v_add_u32_e32 v1, s17, v3
	v_ashrrev_i32_e32 v3, 31, v1
	v_mov_b32_e32 v4, s37
	v_add_co_u32_e32 v2, vcc, s36, v1
	s_cmp_lt_i32 s16, 11
	v_addc_co_u32_e32 v3, vcc, v4, v3, vcc
	s_cbranch_scc1 .LBB18_984
; %bb.825:
	s_and_b32 s17, 0xffff, s16
	s_mov_b64 s[10:11], -1
	s_mov_b64 s[8:9], 0
	s_cmp_gt_i32 s17, 25
	s_mov_b64 s[4:5], 0
	s_cbranch_scc0 .LBB18_858
; %bb.826:
	s_cmp_gt_i32 s17, 28
	s_cbranch_scc0 .LBB18_842
; %bb.827:
	s_cmp_gt_i32 s17, 43
	;; [unrolled: 3-line block ×3, first 2 shown]
	s_cbranch_scc0 .LBB18_832
; %bb.829:
	s_cmp_eq_u32 s17, 46
	s_mov_b64 s[4:5], -1
	s_cbranch_scc0 .LBB18_831
; %bb.830:
	v_bfe_u32 v1, v0, 16, 1
	s_movk_i32 s4, 0x7fff
	v_add3_u32 v1, v0, v1, s4
	v_cmp_o_f32_e32 vcc, v0, v0
	v_mov_b32_e32 v4, 0x7fc0
	v_cndmask_b32_sdwa v1, v4, v1, vcc dst_sel:DWORD dst_unused:UNUSED_PAD src0_sel:DWORD src1_sel:WORD_1
	global_store_dword v[2:3], v1, off
	s_mov_b64 s[4:5], 0
.LBB18_831:
	s_mov_b64 s[10:11], 0
.LBB18_832:
	s_and_b64 vcc, exec, s[10:11]
	s_cbranch_vccz .LBB18_837
; %bb.833:
	s_cmp_eq_u32 s17, 44
	s_mov_b64 s[4:5], -1
	s_cbranch_scc0 .LBB18_837
; %bb.834:
	v_bfe_u32 v1, v0, 23, 8
	s_movk_i32 s4, 0xff
	v_cmp_ne_u32_e32 vcc, s4, v1
	v_mov_b32_e32 v4, 0xff
	s_and_saveexec_b64 s[10:11], vcc
; %bb.835:
	s_mov_b32 s4, 0x3fffff
	v_and_b32_e32 v5, 0x400000, v0
	v_and_or_b32 v1, v0, s4, v1
	v_cmp_ne_u32_e32 vcc, 0, v5
	v_cmp_ne_u32_e64 s[4:5], 0, v1
	s_and_b64 s[4:5], vcc, s[4:5]
	v_lshrrev_b32_e32 v4, 23, v0
	v_cndmask_b32_e64 v1, 0, 1, s[4:5]
	v_add_u32_e32 v4, v4, v1
; %bb.836:
	s_or_b64 exec, exec, s[10:11]
	s_mov_b64 s[4:5], 0
	global_store_byte v[2:3], v4, off
.LBB18_837:
	s_mov_b64 s[10:11], 0
.LBB18_838:
	s_and_b64 vcc, exec, s[10:11]
	s_cbranch_vccz .LBB18_841
; %bb.839:
	s_cmp_eq_u32 s17, 29
	s_mov_b64 s[4:5], -1
	s_cbranch_scc0 .LBB18_841
; %bb.840:
	v_trunc_f32_e32 v1, v0
	v_mul_f32_e32 v4, 0x2f800000, v1
	v_floor_f32_e32 v4, v4
	v_fmac_f32_e32 v1, 0xcf800000, v4
	v_cvt_u32_f32_e32 v5, v4
	v_cvt_u32_f32_e32 v4, v1
	s_mov_b64 s[4:5], 0
	global_store_dwordx2 v[2:3], v[4:5], off
.LBB18_841:
	s_mov_b64 s[10:11], 0
.LBB18_842:
	s_and_b64 vcc, exec, s[10:11]
	s_cbranch_vccz .LBB18_857
; %bb.843:
	s_cmp_lt_i32 s17, 27
	s_mov_b64 s[10:11], -1
	s_cbranch_scc1 .LBB18_849
; %bb.844:
	v_cvt_u32_f32_e32 v1, v0
	s_cmp_gt_i32 s17, 27
	s_cbranch_scc0 .LBB18_846
; %bb.845:
	global_store_dword v[2:3], v1, off
	s_mov_b64 s[10:11], 0
.LBB18_846:
	s_andn2_b64 vcc, exec, s[10:11]
	s_cbranch_vccnz .LBB18_848
; %bb.847:
	global_store_short v[2:3], v1, off
.LBB18_848:
	s_mov_b64 s[10:11], 0
.LBB18_849:
	s_andn2_b64 vcc, exec, s[10:11]
	s_cbranch_vccnz .LBB18_857
; %bb.850:
	v_and_b32_e32 v1, 0x7fffffff, v0
	s_mov_b32 s10, 0x43800000
	v_cmp_gt_u32_e32 vcc, s10, v1
	v_mov_b32_e32 v4, 0x80
	s_and_saveexec_b64 s[10:11], vcc
	s_cbranch_execz .LBB18_856
; %bb.851:
	s_mov_b32 s12, 0x3bffffff
	v_cmp_lt_u32_e32 vcc, s12, v1
	s_mov_b64 s[12:13], 0
                                        ; implicit-def: $vgpr1
	s_and_saveexec_b64 s[14:15], vcc
	s_xor_b64 s[14:15], exec, s[14:15]
	s_cbranch_execz .LBB18_1002
; %bb.852:
	v_bfe_u32 v1, v0, 20, 1
	s_mov_b32 s18, 0x487ffff
	v_add3_u32 v1, v0, v1, s18
	s_mov_b64 s[12:13], exec
	v_lshrrev_b32_e32 v1, 20, v1
	s_andn2_saveexec_b64 s[14:15], s[14:15]
	s_cbranch_execnz .LBB18_1003
.LBB18_853:
	s_or_b64 exec, exec, s[14:15]
	v_mov_b32_e32 v4, 0
	s_and_saveexec_b64 s[14:15], s[12:13]
.LBB18_854:
	v_lshrrev_b32_e32 v4, 24, v0
	s_movk_i32 s12, 0x80
	v_and_or_b32 v4, v4, s12, v1
.LBB18_855:
	s_or_b64 exec, exec, s[14:15]
.LBB18_856:
	s_or_b64 exec, exec, s[10:11]
	global_store_byte v[2:3], v4, off
.LBB18_857:
	s_mov_b64 s[10:11], 0
.LBB18_858:
	s_and_b64 vcc, exec, s[10:11]
	s_cbranch_vccz .LBB18_898
; %bb.859:
	s_cmp_gt_i32 s17, 22
	s_mov_b64 s[8:9], -1
	s_cbranch_scc0 .LBB18_891
; %bb.860:
	s_cmp_lt_i32 s17, 24
	s_cbranch_scc1 .LBB18_880
; %bb.861:
	s_cmp_gt_i32 s17, 24
	s_cbranch_scc0 .LBB18_869
; %bb.862:
	v_and_b32_e32 v1, 0x7fffffff, v0
	s_mov_b32 s8, 0x47800000
	v_cmp_gt_u32_e32 vcc, s8, v1
	v_mov_b32_e32 v4, 0x80
	s_and_saveexec_b64 s[8:9], vcc
	s_cbranch_execz .LBB18_868
; %bb.863:
	s_mov_b32 s10, 0x37ffffff
	v_cmp_lt_u32_e32 vcc, s10, v1
	s_mov_b64 s[10:11], 0
                                        ; implicit-def: $vgpr1
	s_and_saveexec_b64 s[12:13], vcc
	s_xor_b64 s[12:13], exec, s[12:13]
	s_cbranch_execz .LBB18_1009
; %bb.864:
	v_bfe_u32 v1, v0, 21, 1
	s_mov_b32 s14, 0x88fffff
	v_add3_u32 v1, v0, v1, s14
	s_mov_b64 s[10:11], exec
	v_lshrrev_b32_e32 v1, 21, v1
	s_andn2_saveexec_b64 s[12:13], s[12:13]
	s_cbranch_execnz .LBB18_1010
.LBB18_865:
	s_or_b64 exec, exec, s[12:13]
	v_mov_b32_e32 v4, 0
	s_and_saveexec_b64 s[12:13], s[10:11]
.LBB18_866:
	v_lshrrev_b32_e32 v4, 24, v0
	s_movk_i32 s10, 0x80
	v_and_or_b32 v4, v4, s10, v1
.LBB18_867:
	s_or_b64 exec, exec, s[12:13]
.LBB18_868:
	s_or_b64 exec, exec, s[8:9]
	s_mov_b64 s[8:9], 0
	global_store_byte v[2:3], v4, off
.LBB18_869:
	s_and_b64 vcc, exec, s[8:9]
	s_cbranch_vccz .LBB18_879
; %bb.870:
	v_and_b32_e32 v4, 0x7fffffff, v0
	s_mov_b32 s8, 0x43f00000
	v_cmp_gt_u32_e32 vcc, s8, v4
                                        ; implicit-def: $vgpr1
	s_and_saveexec_b64 s[8:9], vcc
	s_xor_b64 s[8:9], exec, s[8:9]
	s_cbranch_execz .LBB18_876
; %bb.871:
	s_mov_b32 s10, 0x3c7fffff
	v_cmp_lt_u32_e32 vcc, s10, v4
                                        ; implicit-def: $vgpr1
	s_and_saveexec_b64 s[10:11], vcc
	s_xor_b64 s[10:11], exec, s[10:11]
; %bb.872:
	v_bfe_u32 v1, v0, 20, 1
	s_mov_b32 s12, 0x407ffff
	v_add3_u32 v1, v0, v1, s12
	v_lshrrev_b32_e32 v4, 20, v1
	v_and_b32_e32 v1, 0xff00000, v1
	s_mov_b32 s12, 0x7f00000
	v_mov_b32_e32 v5, 0x7e
	v_cmp_ne_u32_e32 vcc, s12, v1
	v_cndmask_b32_e32 v1, v5, v4, vcc
; %bb.873:
	s_andn2_saveexec_b64 s[10:11], s[10:11]
; %bb.874:
	s_mov_b32 s12, 0x46800000
	v_add_f32_e64 v1, |v0|, s12
; %bb.875:
	s_or_b64 exec, exec, s[10:11]
                                        ; implicit-def: $vgpr4
.LBB18_876:
	s_andn2_saveexec_b64 s[8:9], s[8:9]
; %bb.877:
	s_mov_b32 s10, 0x7f800000
	v_mov_b32_e32 v1, 0x7e
	v_mov_b32_e32 v5, 0x7f
	v_cmp_lt_u32_e32 vcc, s10, v4
	v_cndmask_b32_e32 v1, v1, v5, vcc
; %bb.878:
	s_or_b64 exec, exec, s[8:9]
	v_lshrrev_b32_e32 v4, 24, v0
	s_movk_i32 s8, 0x80
	v_and_or_b32 v1, v4, s8, v1
	global_store_byte v[2:3], v1, off
.LBB18_879:
	s_mov_b64 s[8:9], 0
.LBB18_880:
	s_andn2_b64 vcc, exec, s[8:9]
	s_cbranch_vccnz .LBB18_890
; %bb.881:
	v_and_b32_e32 v4, 0x7fffffff, v0
	s_mov_b32 s8, 0x47800000
	v_cmp_gt_u32_e32 vcc, s8, v4
                                        ; implicit-def: $vgpr1
	s_and_saveexec_b64 s[8:9], vcc
	s_xor_b64 s[8:9], exec, s[8:9]
	s_cbranch_execz .LBB18_887
; %bb.882:
	s_mov_b32 s10, 0x387fffff
	v_cmp_lt_u32_e32 vcc, s10, v4
                                        ; implicit-def: $vgpr1
	s_and_saveexec_b64 s[10:11], vcc
	s_xor_b64 s[10:11], exec, s[10:11]
; %bb.883:
	v_bfe_u32 v1, v0, 21, 1
	s_mov_b32 s12, 0x80fffff
	v_add3_u32 v1, v0, v1, s12
	v_lshrrev_b32_e32 v1, 21, v1
; %bb.884:
	s_andn2_saveexec_b64 s[10:11], s[10:11]
; %bb.885:
	s_mov_b32 s12, 0x43000000
	v_add_f32_e64 v1, |v0|, s12
; %bb.886:
	s_or_b64 exec, exec, s[10:11]
                                        ; implicit-def: $vgpr4
.LBB18_887:
	s_andn2_saveexec_b64 s[8:9], s[8:9]
; %bb.888:
	s_mov_b32 s10, 0x7f800000
	v_mov_b32_e32 v1, 0x7c
	v_mov_b32_e32 v5, 0x7f
	v_cmp_lt_u32_e32 vcc, s10, v4
	v_cndmask_b32_e32 v1, v1, v5, vcc
; %bb.889:
	s_or_b64 exec, exec, s[8:9]
	v_lshrrev_b32_e32 v4, 24, v0
	s_movk_i32 s8, 0x80
	v_and_or_b32 v1, v4, s8, v1
	global_store_byte v[2:3], v1, off
.LBB18_890:
	s_mov_b64 s[8:9], 0
.LBB18_891:
	s_andn2_b64 vcc, exec, s[8:9]
	s_mov_b64 s[8:9], 0
	s_cbranch_vccnz .LBB18_898
; %bb.892:
	s_cmp_gt_i32 s17, 14
	s_mov_b64 s[10:11], -1
	s_cbranch_scc0 .LBB18_896
; %bb.893:
	s_cmp_eq_u32 s17, 15
	s_mov_b64 s[4:5], -1
	s_cbranch_scc0 .LBB18_895
; %bb.894:
	v_bfe_u32 v1, v0, 16, 1
	s_movk_i32 s4, 0x7fff
	v_add3_u32 v1, v0, v1, s4
	v_cmp_o_f32_e32 vcc, v0, v0
	v_mov_b32_e32 v4, 0x7fc0
	v_cndmask_b32_sdwa v1, v4, v1, vcc dst_sel:DWORD dst_unused:UNUSED_PAD src0_sel:DWORD src1_sel:WORD_1
	global_store_short v[2:3], v1, off
	s_mov_b64 s[4:5], 0
.LBB18_895:
	s_mov_b64 s[10:11], 0
.LBB18_896:
	s_and_b64 vcc, exec, s[10:11]
	s_cbranch_vccz .LBB18_898
; %bb.897:
	s_cmp_lg_u32 s17, 11
	s_mov_b64 s[8:9], -1
	s_cselect_b64 s[4:5], -1, 0
.LBB18_898:
	s_and_b64 vcc, exec, s[4:5]
	s_cbranch_vccnz .LBB18_1004
.LBB18_899:
	s_mov_b64 s[4:5], 0
	s_branch .LBB18_940
.LBB18_900:
	s_mov_b64 s[10:11], 0
	s_cbranch_execz .LBB18_823
; %bb.901:
	s_and_b32 s8, 0xffff, s16
	s_cmp_lt_i32 s8, 5
	s_mov_b64 s[4:5], -1
	s_cbranch_scc1 .LBB18_922
; %bb.902:
	s_cmp_lt_i32 s8, 8
	s_cbranch_scc1 .LBB18_912
; %bb.903:
	s_cmp_lt_i32 s8, 9
	s_cbranch_scc1 .LBB18_909
; %bb.904:
	s_cmp_gt_i32 s8, 9
	s_cbranch_scc0 .LBB18_906
; %bb.905:
	v_cvt_f64_f32_e32 v[4:5], v20
	v_mov_b32_e32 v6, 0
	v_mov_b32_e32 v7, v6
	s_mov_b64 s[4:5], 0
	global_store_dwordx4 v[1:2], v[4:7], off
.LBB18_906:
	s_andn2_b64 vcc, exec, s[4:5]
	s_cbranch_vccnz .LBB18_908
; %bb.907:
	v_mov_b32_e32 v21, 0
	global_store_dwordx2 v[1:2], v[20:21], off
.LBB18_908:
	s_mov_b64 s[4:5], 0
.LBB18_909:
	s_andn2_b64 vcc, exec, s[4:5]
	s_cbranch_vccnz .LBB18_911
; %bb.910:
	v_cvt_f16_f32_e32 v4, v20
	global_store_dword v[1:2], v4, off
.LBB18_911:
	s_mov_b64 s[4:5], 0
.LBB18_912:
	s_andn2_b64 vcc, exec, s[4:5]
	s_cbranch_vccnz .LBB18_921
; %bb.913:
	s_cmp_lt_i32 s8, 6
	s_mov_b64 s[4:5], -1
	s_cbranch_scc1 .LBB18_919
; %bb.914:
	s_cmp_gt_i32 s8, 6
	s_cbranch_scc0 .LBB18_916
; %bb.915:
	v_cvt_f64_f32_e32 v[4:5], v20
	s_mov_b64 s[4:5], 0
	global_store_dwordx2 v[1:2], v[4:5], off
.LBB18_916:
	s_andn2_b64 vcc, exec, s[4:5]
	s_cbranch_vccnz .LBB18_918
; %bb.917:
	global_store_dword v[1:2], v20, off
.LBB18_918:
	s_mov_b64 s[4:5], 0
.LBB18_919:
	s_andn2_b64 vcc, exec, s[4:5]
	s_cbranch_vccnz .LBB18_921
; %bb.920:
	v_cvt_f16_f32_e32 v4, v20
	global_store_short v[1:2], v4, off
.LBB18_921:
	s_mov_b64 s[4:5], 0
.LBB18_922:
	s_andn2_b64 vcc, exec, s[4:5]
	s_cbranch_vccnz .LBB18_938
; %bb.923:
	s_cmp_lt_i32 s8, 2
	s_mov_b64 s[4:5], -1
	s_cbranch_scc1 .LBB18_933
; %bb.924:
	s_cmp_lt_i32 s8, 3
	s_cbranch_scc1 .LBB18_930
; %bb.925:
	s_cmp_gt_i32 s8, 3
	s_cbranch_scc0 .LBB18_927
; %bb.926:
	v_trunc_f32_e32 v4, v20
	s_mov_b32 s4, 0x2f800000
	v_mul_f32_e64 v5, |v4|, s4
	v_floor_f32_e32 v5, v5
	s_mov_b32 s4, 0xcf800000
	v_cvt_u32_f32_e32 v6, v5
	v_fma_f32 v5, v5, s4, |v4|
	v_cvt_u32_f32_e32 v5, v5
	v_ashrrev_i32_e32 v7, 31, v4
	v_xor_b32_e32 v6, v6, v7
	s_mov_b64 s[4:5], 0
	v_xor_b32_e32 v4, v5, v7
	v_sub_co_u32_e32 v4, vcc, v4, v7
	v_subb_co_u32_e32 v5, vcc, v6, v7, vcc
	global_store_dwordx2 v[1:2], v[4:5], off
.LBB18_927:
	s_andn2_b64 vcc, exec, s[4:5]
	s_cbranch_vccnz .LBB18_929
; %bb.928:
	v_cvt_i32_f32_e32 v4, v20
	global_store_dword v[1:2], v4, off
.LBB18_929:
	s_mov_b64 s[4:5], 0
.LBB18_930:
	s_andn2_b64 vcc, exec, s[4:5]
	s_cbranch_vccnz .LBB18_932
; %bb.931:
	v_cvt_i32_f32_e32 v4, v20
	global_store_short v[1:2], v4, off
.LBB18_932:
	s_mov_b64 s[4:5], 0
.LBB18_933:
	s_andn2_b64 vcc, exec, s[4:5]
	s_cbranch_vccnz .LBB18_938
; %bb.934:
	s_cmp_gt_i32 s8, 0
	s_mov_b64 s[4:5], -1
	s_cbranch_scc0 .LBB18_936
; %bb.935:
	v_cvt_i32_f32_e32 v4, v20
	s_mov_b64 s[4:5], 0
	global_store_byte v[1:2], v4, off
.LBB18_936:
	s_andn2_b64 vcc, exec, s[4:5]
	s_cbranch_vccnz .LBB18_938
; %bb.937:
	v_trunc_f32_e32 v4, v20
	s_mov_b32 s4, 0x2f800000
	v_mul_f32_e64 v5, |v4|, s4
	v_floor_f32_e32 v5, v5
	s_mov_b32 s4, 0xcf800000
	v_fma_f32 v5, v5, s4, |v4|
	v_cvt_u32_f32_e32 v5, v5
	v_ashrrev_i32_e32 v4, 31, v4
	v_xor_b32_e32 v5, v5, v4
	v_sub_u32_e32 v4, v5, v4
	global_store_byte v[1:2], v4, off
.LBB18_938:
	s_branch .LBB18_824
.LBB18_939:
	s_mov_b64 s[4:5], 0
	s_mov_b64 s[8:9], 0
                                        ; implicit-def: $sgpr16
                                        ; implicit-def: $vgpr2_vgpr3
.LBB18_940:
	s_and_b64 s[34:35], s[8:9], exec
	s_andn2_b64 s[8:9], s[42:43], exec
	s_and_b64 s[6:7], s[6:7], exec
	s_and_b64 s[4:5], s[4:5], exec
	s_or_b64 s[42:43], s[8:9], s[6:7]
.LBB18_941:
	s_or_b64 exec, exec, s[40:41]
	s_and_saveexec_b64 s[6:7], s[42:43]
	s_cbranch_execz .LBB18_944
; %bb.942:
	; divergent unreachable
	s_or_b64 exec, exec, s[6:7]
	s_and_saveexec_b64 s[6:7], s[34:35]
	s_xor_b64 s[6:7], exec, s[6:7]
	s_cbranch_execnz .LBB18_945
.LBB18_943:
	s_or_b64 exec, exec, s[6:7]
	s_and_saveexec_b64 s[6:7], s[4:5]
	s_cbranch_execnz .LBB18_946
	s_branch .LBB18_983
.LBB18_944:
	s_or_b64 exec, exec, s[6:7]
	s_and_saveexec_b64 s[6:7], s[34:35]
	s_xor_b64 s[6:7], exec, s[6:7]
	s_cbranch_execz .LBB18_943
.LBB18_945:
	v_cmp_neq_f32_e32 vcc, 0, v0
	v_cndmask_b32_e64 v1, 0, 1, vcc
	global_store_byte v[2:3], v1, off
	s_or_b64 exec, exec, s[6:7]
	s_and_saveexec_b64 s[6:7], s[4:5]
	s_cbranch_execz .LBB18_983
.LBB18_946:
	s_sext_i32_i16 s6, s16
	s_cmp_lt_i32 s6, 5
	s_mov_b64 s[4:5], -1
	s_cbranch_scc1 .LBB18_967
; %bb.947:
	s_cmp_lt_i32 s6, 8
	s_cbranch_scc1 .LBB18_957
; %bb.948:
	s_cmp_lt_i32 s6, 9
	s_cbranch_scc1 .LBB18_954
; %bb.949:
	s_cmp_gt_i32 s6, 9
	s_cbranch_scc0 .LBB18_951
; %bb.950:
	v_cvt_f64_f32_e32 v[4:5], v0
	v_mov_b32_e32 v6, 0
	v_mov_b32_e32 v7, v6
	s_mov_b64 s[4:5], 0
	global_store_dwordx4 v[2:3], v[4:7], off
.LBB18_951:
	s_andn2_b64 vcc, exec, s[4:5]
	s_cbranch_vccnz .LBB18_953
; %bb.952:
	v_mov_b32_e32 v1, 0
	global_store_dwordx2 v[2:3], v[0:1], off
.LBB18_953:
	s_mov_b64 s[4:5], 0
.LBB18_954:
	s_andn2_b64 vcc, exec, s[4:5]
	s_cbranch_vccnz .LBB18_956
; %bb.955:
	v_cvt_f16_f32_e32 v1, v0
	global_store_dword v[2:3], v1, off
.LBB18_956:
	s_mov_b64 s[4:5], 0
.LBB18_957:
	s_andn2_b64 vcc, exec, s[4:5]
	s_cbranch_vccnz .LBB18_966
; %bb.958:
	s_sext_i32_i16 s6, s16
	s_cmp_lt_i32 s6, 6
	s_mov_b64 s[4:5], -1
	s_cbranch_scc1 .LBB18_964
; %bb.959:
	s_cmp_gt_i32 s6, 6
	s_cbranch_scc0 .LBB18_961
; %bb.960:
	v_cvt_f64_f32_e32 v[4:5], v0
	s_mov_b64 s[4:5], 0
	global_store_dwordx2 v[2:3], v[4:5], off
.LBB18_961:
	s_andn2_b64 vcc, exec, s[4:5]
	s_cbranch_vccnz .LBB18_963
; %bb.962:
	global_store_dword v[2:3], v0, off
.LBB18_963:
	s_mov_b64 s[4:5], 0
.LBB18_964:
	s_andn2_b64 vcc, exec, s[4:5]
	s_cbranch_vccnz .LBB18_966
; %bb.965:
	v_cvt_f16_f32_e32 v1, v0
	global_store_short v[2:3], v1, off
.LBB18_966:
	s_mov_b64 s[4:5], 0
.LBB18_967:
	s_andn2_b64 vcc, exec, s[4:5]
	s_cbranch_vccnz .LBB18_983
; %bb.968:
	s_sext_i32_i16 s6, s16
	s_cmp_lt_i32 s6, 2
	s_mov_b64 s[4:5], -1
	s_cbranch_scc1 .LBB18_978
; %bb.969:
	s_cmp_lt_i32 s6, 3
	s_cbranch_scc1 .LBB18_975
; %bb.970:
	s_cmp_gt_i32 s6, 3
	s_cbranch_scc0 .LBB18_972
; %bb.971:
	v_trunc_f32_e32 v1, v0
	s_mov_b32 s4, 0x2f800000
	v_mul_f32_e64 v4, |v1|, s4
	v_floor_f32_e32 v4, v4
	s_mov_b32 s4, 0xcf800000
	v_cvt_u32_f32_e32 v5, v4
	v_fma_f32 v4, v4, s4, |v1|
	v_cvt_u32_f32_e32 v4, v4
	v_ashrrev_i32_e32 v1, 31, v1
	v_xor_b32_e32 v5, v5, v1
	s_mov_b64 s[4:5], 0
	v_xor_b32_e32 v4, v4, v1
	v_sub_co_u32_e32 v4, vcc, v4, v1
	v_subb_co_u32_e32 v5, vcc, v5, v1, vcc
	global_store_dwordx2 v[2:3], v[4:5], off
.LBB18_972:
	s_andn2_b64 vcc, exec, s[4:5]
	s_cbranch_vccnz .LBB18_974
; %bb.973:
	v_cvt_i32_f32_e32 v1, v0
	global_store_dword v[2:3], v1, off
.LBB18_974:
	s_mov_b64 s[4:5], 0
.LBB18_975:
	s_andn2_b64 vcc, exec, s[4:5]
	s_cbranch_vccnz .LBB18_977
; %bb.976:
	v_cvt_i32_f32_e32 v1, v0
	global_store_short v[2:3], v1, off
.LBB18_977:
	s_mov_b64 s[4:5], 0
.LBB18_978:
	s_andn2_b64 vcc, exec, s[4:5]
	s_cbranch_vccnz .LBB18_983
; %bb.979:
	s_sext_i32_i16 s4, s16
	s_cmp_gt_i32 s4, 0
	s_mov_b64 s[4:5], -1
	s_cbranch_scc0 .LBB18_981
; %bb.980:
	v_cvt_i32_f32_e32 v1, v0
	s_mov_b64 s[4:5], 0
	global_store_byte v[2:3], v1, off
.LBB18_981:
	s_andn2_b64 vcc, exec, s[4:5]
	s_cbranch_vccnz .LBB18_983
; %bb.982:
	v_trunc_f32_e32 v0, v0
	s_mov_b32 s4, 0x2f800000
	v_mul_f32_e64 v1, |v0|, s4
	v_floor_f32_e32 v1, v1
	s_mov_b32 s4, 0xcf800000
	v_fma_f32 v1, v1, s4, |v0|
	v_cvt_u32_f32_e32 v1, v1
	v_ashrrev_i32_e32 v0, 31, v0
	v_xor_b32_e32 v1, v1, v0
	v_sub_u32_e32 v0, v1, v0
	global_store_byte v[2:3], v0, off
	s_endpgm
.LBB18_983:
	s_endpgm
.LBB18_984:
	s_mov_b64 s[8:9], 0
	s_mov_b64 s[4:5], -1
	s_branch .LBB18_940
.LBB18_985:
	s_andn2_saveexec_b64 s[12:13], s[12:13]
	s_cbranch_execz .LBB18_537
.LBB18_986:
	s_mov_b32 s15, 0x46000000
	v_add_f32_e64 v4, |v22|, s15
	v_and_b32_e32 v4, 0xff, v4
	v_cmp_ne_u32_e32 vcc, 0, v4
	s_andn2_b64 s[10:11], s[10:11], exec
	s_and_b64 s[18:19], vcc, exec
	s_or_b64 s[10:11], s[10:11], s[18:19]
	s_or_b64 exec, exec, s[12:13]
	v_mov_b32_e32 v5, 0
	s_and_saveexec_b64 s[12:13], s[10:11]
	s_cbranch_execnz .LBB18_538
	s_branch .LBB18_539
.LBB18_987:
	s_or_b64 s[6:7], s[42:43], exec
	s_trap 2
	s_cbranch_execz .LBB18_585
	s_branch .LBB18_586
.LBB18_988:
	s_andn2_saveexec_b64 s[10:11], s[10:11]
	s_cbranch_execz .LBB18_550
.LBB18_989:
	s_mov_b32 s12, 0x42800000
	v_add_f32_e64 v4, |v22|, s12
	v_and_b32_e32 v4, 0xff, v4
	v_cmp_ne_u32_e32 vcc, 0, v4
	s_andn2_b64 s[8:9], s[8:9], exec
	s_and_b64 s[12:13], vcc, exec
	s_or_b64 s[8:9], s[8:9], s[12:13]
	s_or_b64 exec, exec, s[10:11]
	v_mov_b32_e32 v5, 0
	s_and_saveexec_b64 s[10:11], s[8:9]
	s_cbranch_execnz .LBB18_551
	s_branch .LBB18_552
.LBB18_990:
	s_andn2_saveexec_b64 s[14:15], s[14:15]
	s_cbranch_execz .LBB18_655
.LBB18_991:
	s_mov_b32 s19, 0x46000000
	v_add_f32_e64 v4, |v21|, s19
	v_and_b32_e32 v4, 0xff, v4
	v_cmp_ne_u32_e32 vcc, 0, v4
	s_andn2_b64 s[12:13], s[12:13], exec
	s_and_b64 s[20:21], vcc, exec
	s_or_b64 s[12:13], s[12:13], s[20:21]
	s_or_b64 exec, exec, s[14:15]
	v_mov_b32_e32 v5, 0
	s_and_saveexec_b64 s[14:15], s[12:13]
	s_cbranch_execnz .LBB18_656
	s_branch .LBB18_657
.LBB18_992:
	s_trap 2
	s_or_b64 s[6:7], s[6:7], exec
	s_cbranch_execz .LBB18_703
	s_branch .LBB18_704
.LBB18_993:
	s_andn2_saveexec_b64 s[12:13], s[12:13]
	s_cbranch_execz .LBB18_668
.LBB18_994:
	s_mov_b32 s14, 0x42800000
	v_add_f32_e64 v4, |v21|, s14
	v_and_b32_e32 v4, 0xff, v4
	v_cmp_ne_u32_e32 vcc, 0, v4
	s_andn2_b64 s[10:11], s[10:11], exec
	s_and_b64 s[14:15], vcc, exec
	s_or_b64 s[10:11], s[10:11], s[14:15]
	s_or_b64 exec, exec, s[12:13]
	v_mov_b32_e32 v5, 0
	s_and_saveexec_b64 s[12:13], s[10:11]
	s_cbranch_execnz .LBB18_669
	s_branch .LBB18_670
.LBB18_995:
	s_andn2_saveexec_b64 s[14:15], s[14:15]
	s_cbranch_execz .LBB18_773
.LBB18_996:
	s_mov_b32 s19, 0x46000000
	v_add_f32_e64 v4, |v20|, s19
	v_and_b32_e32 v4, 0xff, v4
	v_cmp_ne_u32_e32 vcc, 0, v4
	s_andn2_b64 s[12:13], s[12:13], exec
	s_and_b64 s[20:21], vcc, exec
	s_or_b64 s[12:13], s[12:13], s[20:21]
	s_or_b64 exec, exec, s[14:15]
	v_mov_b32_e32 v5, 0
	s_and_saveexec_b64 s[14:15], s[12:13]
	s_cbranch_execnz .LBB18_774
	s_branch .LBB18_775
.LBB18_997:
	s_trap 2
	s_or_b64 s[6:7], s[6:7], exec
	s_cbranch_execz .LBB18_821
	s_branch .LBB18_822
.LBB18_998:
	s_andn2_saveexec_b64 s[10:11], s[10:11]
	s_cbranch_execz .LBB18_295
.LBB18_999:
	s_mov_b32 s14, 0x46000000
	v_add_f32_e64 v1, |v0|, s14
	v_and_b32_e32 v1, 0xff, v1
	v_cmp_ne_u32_e32 vcc, 0, v1
	s_andn2_b64 s[8:9], s[8:9], exec
	s_and_b64 s[14:15], vcc, exec
	s_or_b64 s[8:9], s[8:9], s[14:15]
	s_or_b64 exec, exec, s[10:11]
	v_mov_b32_e32 v4, 0
	s_and_saveexec_b64 s[10:11], s[8:9]
	s_cbranch_execnz .LBB18_296
	s_branch .LBB18_297
.LBB18_1000:
	s_andn2_saveexec_b64 s[12:13], s[12:13]
	s_cbranch_execz .LBB18_786
.LBB18_1001:
	s_mov_b32 s14, 0x42800000
	v_add_f32_e64 v4, |v20|, s14
	v_and_b32_e32 v4, 0xff, v4
	v_cmp_ne_u32_e32 vcc, 0, v4
	s_andn2_b64 s[10:11], s[10:11], exec
	s_and_b64 s[14:15], vcc, exec
	s_or_b64 s[10:11], s[10:11], s[14:15]
	s_or_b64 exec, exec, s[12:13]
	v_mov_b32_e32 v5, 0
	s_and_saveexec_b64 s[12:13], s[10:11]
	s_cbranch_execnz .LBB18_787
	s_branch .LBB18_788
.LBB18_1002:
	s_andn2_saveexec_b64 s[14:15], s[14:15]
	s_cbranch_execz .LBB18_853
.LBB18_1003:
	s_mov_b32 s18, 0x46000000
	v_add_f32_e64 v1, |v0|, s18
	v_and_b32_e32 v1, 0xff, v1
	v_cmp_ne_u32_e32 vcc, 0, v1
	s_andn2_b64 s[12:13], s[12:13], exec
	s_and_b64 s[18:19], vcc, exec
	s_or_b64 s[12:13], s[12:13], s[18:19]
	s_or_b64 exec, exec, s[14:15]
	v_mov_b32_e32 v4, 0
	s_and_saveexec_b64 s[14:15], s[12:13]
	s_cbranch_execnz .LBB18_854
	s_branch .LBB18_855
.LBB18_1004:
	s_mov_b64 s[8:9], 0
	s_or_b64 s[6:7], s[6:7], exec
	s_trap 2
	s_branch .LBB18_899
.LBB18_1005:
	s_andn2_saveexec_b64 s[10:11], s[10:11]
	s_cbranch_execz .LBB18_308
.LBB18_1006:
	s_mov_b32 s14, 0x42800000
	v_add_f32_e64 v1, |v0|, s14
	v_and_b32_e32 v1, 0xff, v1
	v_cmp_ne_u32_e32 vcc, 0, v1
	s_andn2_b64 s[8:9], s[8:9], exec
	s_and_b64 s[14:15], vcc, exec
	s_or_b64 s[8:9], s[8:9], s[14:15]
	s_or_b64 exec, exec, s[10:11]
	v_mov_b32_e32 v4, 0
	s_and_saveexec_b64 s[10:11], s[8:9]
	s_cbranch_execnz .LBB18_309
	s_branch .LBB18_310
.LBB18_1007:
	s_andn2_saveexec_b64 s[10:11], s[10:11]
	s_cbranch_execz .LBB18_418
.LBB18_1008:
	s_mov_b32 s12, 0x46000000
	v_add_f32_e64 v1, |v0|, s12
	v_and_b32_e32 v1, 0xff, v1
	v_cmp_ne_u32_e32 vcc, 0, v1
	s_andn2_b64 s[8:9], s[8:9], exec
	s_and_b64 s[12:13], vcc, exec
	s_or_b64 s[8:9], s[8:9], s[12:13]
	s_or_b64 exec, exec, s[10:11]
	v_mov_b32_e32 v4, 0
	s_and_saveexec_b64 s[10:11], s[8:9]
	s_cbranch_execnz .LBB18_419
	s_branch .LBB18_420
.LBB18_1009:
	s_andn2_saveexec_b64 s[12:13], s[12:13]
	s_cbranch_execz .LBB18_865
.LBB18_1010:
	s_mov_b32 s14, 0x42800000
	v_add_f32_e64 v1, |v0|, s14
	v_and_b32_e32 v1, 0xff, v1
	v_cmp_ne_u32_e32 vcc, 0, v1
	s_andn2_b64 s[10:11], s[10:11], exec
	s_and_b64 s[14:15], vcc, exec
	s_or_b64 s[10:11], s[10:11], s[14:15]
	s_or_b64 exec, exec, s[12:13]
	v_mov_b32_e32 v4, 0
	s_and_saveexec_b64 s[12:13], s[10:11]
	s_cbranch_execnz .LBB18_866
	s_branch .LBB18_867
.LBB18_1011:
	s_andn2_saveexec_b64 s[12:13], s[12:13]
	s_cbranch_execz .LBB18_430
.LBB18_1012:
	s_mov_b32 s16, 0x42800000
	v_add_f32_e64 v1, |v0|, s16
	v_and_b32_e32 v1, 0xff, v1
	v_cmp_ne_u32_e32 vcc, 0, v1
	s_andn2_b64 s[10:11], s[10:11], exec
	s_and_b64 s[16:17], vcc, exec
	s_or_b64 s[10:11], s[10:11], s[16:17]
	s_or_b64 exec, exec, s[12:13]
	v_mov_b32_e32 v4, 0
	s_and_saveexec_b64 s[12:13], s[10:11]
	s_cbranch_execnz .LBB18_431
	s_branch .LBB18_432
	.section	.rodata,"a",@progbits
	.p2align	6, 0x0
	.amdhsa_kernel _ZN2at6native32elementwise_kernel_manual_unrollILi128ELi4EZNS0_15gpu_kernel_implIZZZNS0_12_GLOBAL__N_121bessel_j1_kernel_cudaERNS_18TensorIteratorBaseEENKUlvE_clEvENKUlvE0_clEvEUlfE_EEvS5_RKT_EUlibE_EEviT1_
		.amdhsa_group_segment_fixed_size 0
		.amdhsa_private_segment_fixed_size 0
		.amdhsa_kernarg_size 40
		.amdhsa_user_sgpr_count 6
		.amdhsa_user_sgpr_private_segment_buffer 1
		.amdhsa_user_sgpr_dispatch_ptr 0
		.amdhsa_user_sgpr_queue_ptr 0
		.amdhsa_user_sgpr_kernarg_segment_ptr 1
		.amdhsa_user_sgpr_dispatch_id 0
		.amdhsa_user_sgpr_flat_scratch_init 0
		.amdhsa_user_sgpr_private_segment_size 0
		.amdhsa_uses_dynamic_stack 0
		.amdhsa_system_sgpr_private_segment_wavefront_offset 0
		.amdhsa_system_sgpr_workgroup_id_x 1
		.amdhsa_system_sgpr_workgroup_id_y 0
		.amdhsa_system_sgpr_workgroup_id_z 0
		.amdhsa_system_sgpr_workgroup_info 0
		.amdhsa_system_vgpr_workitem_id 0
		.amdhsa_next_free_vgpr 27
		.amdhsa_next_free_sgpr 56
		.amdhsa_reserve_vcc 1
		.amdhsa_reserve_flat_scratch 0
		.amdhsa_float_round_mode_32 0
		.amdhsa_float_round_mode_16_64 0
		.amdhsa_float_denorm_mode_32 3
		.amdhsa_float_denorm_mode_16_64 3
		.amdhsa_dx10_clamp 1
		.amdhsa_ieee_mode 1
		.amdhsa_fp16_overflow 0
		.amdhsa_exception_fp_ieee_invalid_op 0
		.amdhsa_exception_fp_denorm_src 0
		.amdhsa_exception_fp_ieee_div_zero 0
		.amdhsa_exception_fp_ieee_overflow 0
		.amdhsa_exception_fp_ieee_underflow 0
		.amdhsa_exception_fp_ieee_inexact 0
		.amdhsa_exception_int_div_zero 0
	.end_amdhsa_kernel
	.section	.text._ZN2at6native32elementwise_kernel_manual_unrollILi128ELi4EZNS0_15gpu_kernel_implIZZZNS0_12_GLOBAL__N_121bessel_j1_kernel_cudaERNS_18TensorIteratorBaseEENKUlvE_clEvENKUlvE0_clEvEUlfE_EEvS5_RKT_EUlibE_EEviT1_,"axG",@progbits,_ZN2at6native32elementwise_kernel_manual_unrollILi128ELi4EZNS0_15gpu_kernel_implIZZZNS0_12_GLOBAL__N_121bessel_j1_kernel_cudaERNS_18TensorIteratorBaseEENKUlvE_clEvENKUlvE0_clEvEUlfE_EEvS5_RKT_EUlibE_EEviT1_,comdat
.Lfunc_end18:
	.size	_ZN2at6native32elementwise_kernel_manual_unrollILi128ELi4EZNS0_15gpu_kernel_implIZZZNS0_12_GLOBAL__N_121bessel_j1_kernel_cudaERNS_18TensorIteratorBaseEENKUlvE_clEvENKUlvE0_clEvEUlfE_EEvS5_RKT_EUlibE_EEviT1_, .Lfunc_end18-_ZN2at6native32elementwise_kernel_manual_unrollILi128ELi4EZNS0_15gpu_kernel_implIZZZNS0_12_GLOBAL__N_121bessel_j1_kernel_cudaERNS_18TensorIteratorBaseEENKUlvE_clEvENKUlvE0_clEvEUlfE_EEvS5_RKT_EUlibE_EEviT1_
                                        ; -- End function
	.set _ZN2at6native32elementwise_kernel_manual_unrollILi128ELi4EZNS0_15gpu_kernel_implIZZZNS0_12_GLOBAL__N_121bessel_j1_kernel_cudaERNS_18TensorIteratorBaseEENKUlvE_clEvENKUlvE0_clEvEUlfE_EEvS5_RKT_EUlibE_EEviT1_.num_vgpr, max(27, .L_ZN2at6native6invokeIZZZNS0_12_GLOBAL__N_121bessel_j1_kernel_cudaERNS_18TensorIteratorBaseEENKUlvE_clEvENKUlvE0_clEvEUlfE_i15function_traitsIS7_EEENT1_11result_typeERKT_PrKPcPKT0_PKN3c1010ScalarTypeEi.num_vgpr)
	.set _ZN2at6native32elementwise_kernel_manual_unrollILi128ELi4EZNS0_15gpu_kernel_implIZZZNS0_12_GLOBAL__N_121bessel_j1_kernel_cudaERNS_18TensorIteratorBaseEENKUlvE_clEvENKUlvE0_clEvEUlfE_EEvS5_RKT_EUlibE_EEviT1_.num_agpr, max(0, .L_ZN2at6native6invokeIZZZNS0_12_GLOBAL__N_121bessel_j1_kernel_cudaERNS_18TensorIteratorBaseEENKUlvE_clEvENKUlvE0_clEvEUlfE_i15function_traitsIS7_EEENT1_11result_typeERKT_PrKPcPKT0_PKN3c1010ScalarTypeEi.num_agpr)
	.set _ZN2at6native32elementwise_kernel_manual_unrollILi128ELi4EZNS0_15gpu_kernel_implIZZZNS0_12_GLOBAL__N_121bessel_j1_kernel_cudaERNS_18TensorIteratorBaseEENKUlvE_clEvENKUlvE0_clEvEUlfE_EEvS5_RKT_EUlibE_EEviT1_.numbered_sgpr, max(56, .L_ZN2at6native6invokeIZZZNS0_12_GLOBAL__N_121bessel_j1_kernel_cudaERNS_18TensorIteratorBaseEENKUlvE_clEvENKUlvE0_clEvEUlfE_i15function_traitsIS7_EEENT1_11result_typeERKT_PrKPcPKT0_PKN3c1010ScalarTypeEi.numbered_sgpr)
	.set _ZN2at6native32elementwise_kernel_manual_unrollILi128ELi4EZNS0_15gpu_kernel_implIZZZNS0_12_GLOBAL__N_121bessel_j1_kernel_cudaERNS_18TensorIteratorBaseEENKUlvE_clEvENKUlvE0_clEvEUlfE_EEvS5_RKT_EUlibE_EEviT1_.num_named_barrier, max(0, .L_ZN2at6native6invokeIZZZNS0_12_GLOBAL__N_121bessel_j1_kernel_cudaERNS_18TensorIteratorBaseEENKUlvE_clEvENKUlvE0_clEvEUlfE_i15function_traitsIS7_EEENT1_11result_typeERKT_PrKPcPKT0_PKN3c1010ScalarTypeEi.num_named_barrier)
	.set _ZN2at6native32elementwise_kernel_manual_unrollILi128ELi4EZNS0_15gpu_kernel_implIZZZNS0_12_GLOBAL__N_121bessel_j1_kernel_cudaERNS_18TensorIteratorBaseEENKUlvE_clEvENKUlvE0_clEvEUlfE_EEvS5_RKT_EUlibE_EEviT1_.private_seg_size, 0+max(.L_ZN2at6native6invokeIZZZNS0_12_GLOBAL__N_121bessel_j1_kernel_cudaERNS_18TensorIteratorBaseEENKUlvE_clEvENKUlvE0_clEvEUlfE_i15function_traitsIS7_EEENT1_11result_typeERKT_PrKPcPKT0_PKN3c1010ScalarTypeEi.private_seg_size)
	.set _ZN2at6native32elementwise_kernel_manual_unrollILi128ELi4EZNS0_15gpu_kernel_implIZZZNS0_12_GLOBAL__N_121bessel_j1_kernel_cudaERNS_18TensorIteratorBaseEENKUlvE_clEvENKUlvE0_clEvEUlfE_EEvS5_RKT_EUlibE_EEviT1_.uses_vcc, or(1, .L_ZN2at6native6invokeIZZZNS0_12_GLOBAL__N_121bessel_j1_kernel_cudaERNS_18TensorIteratorBaseEENKUlvE_clEvENKUlvE0_clEvEUlfE_i15function_traitsIS7_EEENT1_11result_typeERKT_PrKPcPKT0_PKN3c1010ScalarTypeEi.uses_vcc)
	.set _ZN2at6native32elementwise_kernel_manual_unrollILi128ELi4EZNS0_15gpu_kernel_implIZZZNS0_12_GLOBAL__N_121bessel_j1_kernel_cudaERNS_18TensorIteratorBaseEENKUlvE_clEvENKUlvE0_clEvEUlfE_EEvS5_RKT_EUlibE_EEviT1_.uses_flat_scratch, or(0, .L_ZN2at6native6invokeIZZZNS0_12_GLOBAL__N_121bessel_j1_kernel_cudaERNS_18TensorIteratorBaseEENKUlvE_clEvENKUlvE0_clEvEUlfE_i15function_traitsIS7_EEENT1_11result_typeERKT_PrKPcPKT0_PKN3c1010ScalarTypeEi.uses_flat_scratch)
	.set _ZN2at6native32elementwise_kernel_manual_unrollILi128ELi4EZNS0_15gpu_kernel_implIZZZNS0_12_GLOBAL__N_121bessel_j1_kernel_cudaERNS_18TensorIteratorBaseEENKUlvE_clEvENKUlvE0_clEvEUlfE_EEvS5_RKT_EUlibE_EEviT1_.has_dyn_sized_stack, or(0, .L_ZN2at6native6invokeIZZZNS0_12_GLOBAL__N_121bessel_j1_kernel_cudaERNS_18TensorIteratorBaseEENKUlvE_clEvENKUlvE0_clEvEUlfE_i15function_traitsIS7_EEENT1_11result_typeERKT_PrKPcPKT0_PKN3c1010ScalarTypeEi.has_dyn_sized_stack)
	.set _ZN2at6native32elementwise_kernel_manual_unrollILi128ELi4EZNS0_15gpu_kernel_implIZZZNS0_12_GLOBAL__N_121bessel_j1_kernel_cudaERNS_18TensorIteratorBaseEENKUlvE_clEvENKUlvE0_clEvEUlfE_EEvS5_RKT_EUlibE_EEviT1_.has_recursion, or(0, .L_ZN2at6native6invokeIZZZNS0_12_GLOBAL__N_121bessel_j1_kernel_cudaERNS_18TensorIteratorBaseEENKUlvE_clEvENKUlvE0_clEvEUlfE_i15function_traitsIS7_EEENT1_11result_typeERKT_PrKPcPKT0_PKN3c1010ScalarTypeEi.has_recursion)
	.set _ZN2at6native32elementwise_kernel_manual_unrollILi128ELi4EZNS0_15gpu_kernel_implIZZZNS0_12_GLOBAL__N_121bessel_j1_kernel_cudaERNS_18TensorIteratorBaseEENKUlvE_clEvENKUlvE0_clEvEUlfE_EEvS5_RKT_EUlibE_EEviT1_.has_indirect_call, or(0, .L_ZN2at6native6invokeIZZZNS0_12_GLOBAL__N_121bessel_j1_kernel_cudaERNS_18TensorIteratorBaseEENKUlvE_clEvENKUlvE0_clEvEUlfE_i15function_traitsIS7_EEENT1_11result_typeERKT_PrKPcPKT0_PKN3c1010ScalarTypeEi.has_indirect_call)
	.section	.AMDGPU.csdata,"",@progbits
; Kernel info:
; codeLenInByte = 16928
; TotalNumSgprs: 60
; NumVgprs: 27
; ScratchSize: 0
; MemoryBound: 0
; FloatMode: 240
; IeeeMode: 1
; LDSByteSize: 0 bytes/workgroup (compile time only)
; SGPRBlocks: 7
; VGPRBlocks: 6
; NumSGPRsForWavesPerEU: 60
; NumVGPRsForWavesPerEU: 27
; Occupancy: 9
; WaveLimiterHint : 0
; COMPUTE_PGM_RSRC2:SCRATCH_EN: 0
; COMPUTE_PGM_RSRC2:USER_SGPR: 6
; COMPUTE_PGM_RSRC2:TRAP_HANDLER: 0
; COMPUTE_PGM_RSRC2:TGID_X_EN: 1
; COMPUTE_PGM_RSRC2:TGID_Y_EN: 0
; COMPUTE_PGM_RSRC2:TGID_Z_EN: 0
; COMPUTE_PGM_RSRC2:TIDIG_COMP_CNT: 0
	.text
	.p2align	2                               ; -- Begin function _ZN2at6native6invokeIZZZNS0_12_GLOBAL__N_121bessel_j1_kernel_cudaERNS_18TensorIteratorBaseEENKUlvE_clEvENKUlvE0_clEvEUlfE_j15function_traitsIS7_EEENT1_11result_typeERKT_PrKPcPKT0_PKN3c1010ScalarTypeEi
	.type	_ZN2at6native6invokeIZZZNS0_12_GLOBAL__N_121bessel_j1_kernel_cudaERNS_18TensorIteratorBaseEENKUlvE_clEvENKUlvE0_clEvEUlfE_j15function_traitsIS7_EEENT1_11result_typeERKT_PrKPcPKT0_PKN3c1010ScalarTypeEi,@function
_ZN2at6native6invokeIZZZNS0_12_GLOBAL__N_121bessel_j1_kernel_cudaERNS_18TensorIteratorBaseEENKUlvE_clEvENKUlvE0_clEvEUlfE_j15function_traitsIS7_EEENT1_11result_typeERKT_PrKPcPKT0_PKN3c1010ScalarTypeEi: ; @_ZN2at6native6invokeIZZZNS0_12_GLOBAL__N_121bessel_j1_kernel_cudaERNS_18TensorIteratorBaseEENKUlvE_clEvENKUlvE0_clEvEUlfE_j15function_traitsIS7_EEENT1_11result_typeERKT_PrKPcPKT0_PKN3c1010ScalarTypeEi
; %bb.0:
	s_waitcnt vmcnt(0) expcnt(0) lgkmcnt(0)
	v_add_co_u32_e32 v0, vcc, v0, v2
	v_mov_b32_e32 v2, 10
	v_addc_co_u32_e32 v1, vcc, 0, v1, vcc
	v_cmp_gt_i16_sdwa s[4:5], v3, v2 src0_sel:BYTE_0 src1_sel:DWORD
	s_mov_b64 s[6:7], 0
                                        ; implicit-def: $vgpr2
	s_and_saveexec_b64 s[8:9], s[4:5]
	s_xor_b64 s[4:5], exec, s[8:9]
	s_cbranch_execz .LBB19_46
; %bb.1:
	v_mov_b32_e32 v2, 25
	v_cmp_gt_i16_sdwa s[10:11], v3, v2 src0_sel:BYTE_0 src1_sel:DWORD
	s_mov_b64 s[12:13], 0
	s_mov_b64 s[8:9], 0
                                        ; implicit-def: $vgpr2
	s_and_saveexec_b64 s[14:15], s[10:11]
	s_xor_b64 s[10:11], exec, s[14:15]
	s_cbranch_execz .LBB19_89
; %bb.2:
	v_mov_b32_e32 v2, 28
	v_cmp_gt_i16_sdwa s[8:9], v3, v2 src0_sel:BYTE_0 src1_sel:DWORD
	s_mov_b64 s[14:15], 0
                                        ; implicit-def: $vgpr2
	s_and_saveexec_b64 s[16:17], s[8:9]
	s_xor_b64 s[8:9], exec, s[16:17]
	s_cbranch_execz .LBB19_18
; %bb.3:
	v_mov_b32_e32 v2, 43
	v_cmp_gt_i16_sdwa s[12:13], v3, v2 src0_sel:BYTE_0 src1_sel:DWORD
	s_mov_b64 s[16:17], 0
	s_mov_b64 s[18:19], 0
                                        ; implicit-def: $vgpr2
	s_and_saveexec_b64 s[14:15], s[12:13]
	s_xor_b64 s[12:13], exec, s[14:15]
	s_cbranch_execz .LBB19_13
; %bb.4:
	v_mov_b32_e32 v2, 45
	v_cmp_gt_i16_sdwa s[18:19], v3, v2 src0_sel:BYTE_0 src1_sel:DWORD
	s_mov_b64 s[14:15], 0
                                        ; implicit-def: $vgpr2
	s_and_saveexec_b64 s[20:21], s[18:19]
	s_xor_b64 s[18:19], exec, s[20:21]
	s_cbranch_execz .LBB19_8
; %bb.5:
	v_mov_b32_e32 v2, 46
	v_cmp_eq_u16_sdwa s[22:23], v3, v2 src0_sel:BYTE_0 src1_sel:DWORD
	s_mov_b64 s[20:21], -1
                                        ; implicit-def: $vgpr2
	s_and_saveexec_b64 s[16:17], s[22:23]
	s_cbranch_execz .LBB19_7
; %bb.6:
	flat_load_dword v2, v[0:1]
	s_mov_b64 s[14:15], exec
	s_xor_b64 s[20:21], exec, -1
	s_waitcnt vmcnt(0) lgkmcnt(0)
	v_lshlrev_b32_e32 v2, 16, v2
.LBB19_7:
	s_or_b64 exec, exec, s[16:17]
	s_and_b64 s[16:17], s[14:15], exec
	s_and_b64 s[14:15], s[20:21], exec
                                        ; implicit-def: $vgpr3
.LBB19_8:
	s_andn2_saveexec_b64 s[18:19], s[18:19]
	s_cbranch_execz .LBB19_12
; %bb.9:
	v_mov_b32_e32 v2, 44
	v_cmp_eq_u16_sdwa s[26:27], v3, v2 src0_sel:BYTE_0 src1_sel:DWORD
	s_mov_b64 s[24:25], -1
	s_mov_b64 s[22:23], s[16:17]
                                        ; implicit-def: $vgpr2
	s_and_saveexec_b64 s[20:21], s[26:27]
	s_cbranch_execz .LBB19_11
; %bb.10:
	flat_load_ubyte v2, v[0:1]
	s_movk_i32 s24, 0xff
	v_mov_b32_e32 v3, 0x7f800001
	v_mov_b32_e32 v4, 0x400000
	s_or_b64 s[22:23], s[16:17], exec
	s_waitcnt vmcnt(0) lgkmcnt(0)
	v_lshlrev_b32_e32 v5, 23, v2
	v_cmp_ne_u32_e32 vcc, s24, v2
	v_cndmask_b32_e32 v3, v3, v5, vcc
	v_cmp_ne_u32_e32 vcc, 0, v2
	v_cndmask_b32_e32 v2, v4, v3, vcc
	s_xor_b64 s[24:25], exec, -1
.LBB19_11:
	s_or_b64 exec, exec, s[20:21]
	s_andn2_b64 s[16:17], s[16:17], exec
	s_and_b64 s[20:21], s[22:23], exec
	s_or_b64 s[16:17], s[16:17], s[20:21]
	s_andn2_b64 s[14:15], s[14:15], exec
	s_and_b64 s[20:21], s[24:25], exec
	s_or_b64 s[14:15], s[14:15], s[20:21]
.LBB19_12:
	s_or_b64 exec, exec, s[18:19]
	s_and_b64 s[18:19], s[16:17], exec
	s_and_b64 s[16:17], s[14:15], exec
                                        ; implicit-def: $vgpr3
.LBB19_13:
	s_andn2_saveexec_b64 s[12:13], s[12:13]
	s_cbranch_execz .LBB19_17
; %bb.14:
	v_mov_b32_e32 v2, 29
	v_cmp_eq_u16_sdwa s[24:25], v3, v2 src0_sel:BYTE_0 src1_sel:DWORD
	s_mov_b64 s[20:21], -1
	s_mov_b64 s[22:23], s[18:19]
                                        ; implicit-def: $vgpr2
	s_and_saveexec_b64 s[14:15], s[24:25]
	s_cbranch_execz .LBB19_16
; %bb.15:
	flat_load_dwordx2 v[2:3], v[0:1]
	s_or_b64 s[22:23], s[18:19], exec
	s_xor_b64 s[20:21], exec, -1
	s_waitcnt vmcnt(0) lgkmcnt(0)
	v_ffbh_u32_e32 v4, v3
	v_min_u32_e32 v4, 32, v4
	v_lshlrev_b64 v[2:3], v4, v[2:3]
	v_min_u32_e32 v2, 1, v2
	v_or_b32_e32 v2, v3, v2
	v_cvt_f32_u32_e32 v2, v2
	v_sub_u32_e32 v3, 32, v4
	v_ldexp_f32 v2, v2, v3
.LBB19_16:
	s_or_b64 exec, exec, s[14:15]
	s_andn2_b64 s[14:15], s[18:19], exec
	s_and_b64 s[18:19], s[22:23], exec
	s_or_b64 s[18:19], s[14:15], s[18:19]
	s_andn2_b64 s[14:15], s[16:17], exec
	s_and_b64 s[16:17], s[20:21], exec
	s_or_b64 s[16:17], s[14:15], s[16:17]
.LBB19_17:
	s_or_b64 exec, exec, s[12:13]
	s_and_b64 s[14:15], s[18:19], exec
	s_and_b64 s[12:13], s[16:17], exec
                                        ; implicit-def: $vgpr3
.LBB19_18:
	s_andn2_saveexec_b64 s[8:9], s[8:9]
	s_cbranch_execz .LBB19_34
; %bb.19:
	v_mov_b32_e32 v2, 26
	v_cmp_gt_i16_sdwa s[16:17], v3, v2 src0_sel:BYTE_0 src1_sel:DWORD
                                        ; implicit-def: $vgpr2
	s_and_saveexec_b64 s[18:19], s[16:17]
	s_xor_b64 s[16:17], exec, s[18:19]
	s_cbranch_execz .LBB19_25
; %bb.20:
	v_mov_b32_e32 v2, 27
	v_cmp_gt_i16_sdwa s[18:19], v3, v2 src0_sel:BYTE_0 src1_sel:DWORD
                                        ; implicit-def: $vgpr2
	s_and_saveexec_b64 s[20:21], s[18:19]
	s_xor_b64 s[18:19], exec, s[20:21]
	s_cbranch_execz .LBB19_22
; %bb.21:
	flat_load_dword v2, v[0:1]
	s_waitcnt vmcnt(0) lgkmcnt(0)
	v_cvt_f32_u32_e32 v2, v2
.LBB19_22:
	s_andn2_saveexec_b64 s[18:19], s[18:19]
	s_cbranch_execz .LBB19_24
; %bb.23:
	flat_load_ushort v2, v[0:1]
	s_waitcnt vmcnt(0) lgkmcnt(0)
	v_cvt_f32_u32_e32 v2, v2
.LBB19_24:
	s_or_b64 exec, exec, s[18:19]
.LBB19_25:
	s_andn2_saveexec_b64 s[16:17], s[16:17]
	s_cbranch_execz .LBB19_33
; %bb.26:
	flat_load_ubyte v3, v[0:1]
	s_movk_i32 s18, 0x7f
	s_waitcnt vmcnt(0) lgkmcnt(0)
	v_cmp_lt_i16_e32 vcc, s18, v3
	s_mov_b64 s[18:19], 0
	s_and_saveexec_b64 s[20:21], vcc
	s_xor_b64 s[20:21], exec, s[20:21]
	s_cbranch_execz .LBB19_139
; %bb.27:
	s_movk_i32 s18, 0x80
	v_cmp_eq_u16_e32 vcc, s18, v3
	s_mov_b64 s[18:19], -1
	s_and_saveexec_b64 s[22:23], vcc
; %bb.28:
	s_xor_b64 s[18:19], exec, -1
; %bb.29:
	s_or_b64 exec, exec, s[22:23]
	s_and_b64 s[18:19], s[18:19], exec
	s_or_saveexec_b64 s[20:21], s[20:21]
	v_mov_b32_e32 v2, 0x7f800001
	s_xor_b64 exec, exec, s[20:21]
	s_cbranch_execnz .LBB19_140
.LBB19_30:
	s_or_b64 exec, exec, s[20:21]
	s_and_saveexec_b64 s[20:21], s[18:19]
	s_cbranch_execz .LBB19_32
.LBB19_31:
	v_lshlrev_b32_e32 v2, 24, v3
	v_and_b32_e32 v3, 0xffff, v3
	v_and_b32_e32 v4, 7, v3
	v_ffbh_u32_e32 v6, v4
	v_min_u32_e32 v6, 32, v6
	v_subrev_u32_e32 v7, 28, v6
	v_bfe_u32 v5, v3, 3, 4
	v_lshlrev_b32_e32 v3, v7, v3
	v_sub_u32_e32 v6, 29, v6
	v_and_b32_e32 v3, 7, v3
	v_cmp_eq_u32_e32 vcc, 0, v5
	v_cndmask_b32_e32 v5, v5, v6, vcc
	v_cndmask_b32_e32 v3, v4, v3, vcc
	v_mov_b32_e32 v4, 0x3b800000
	v_lshlrev_b32_e32 v3, 20, v3
	v_and_b32_e32 v2, 0x80000000, v2
	v_lshl_add_u32 v4, v5, 23, v4
	v_or3_b32 v2, v2, v4, v3
.LBB19_32:
	s_or_b64 exec, exec, s[20:21]
.LBB19_33:
	s_or_b64 exec, exec, s[16:17]
	s_or_b64 s[14:15], s[14:15], exec
.LBB19_34:
	s_or_b64 exec, exec, s[8:9]
	s_and_b64 s[8:9], s[14:15], exec
	s_and_b64 s[12:13], s[12:13], exec
                                        ; implicit-def: $vgpr3
	s_andn2_saveexec_b64 s[10:11], s[10:11]
	s_cbranch_execnz .LBB19_90
.LBB19_35:
	s_or_b64 exec, exec, s[10:11]
	s_and_saveexec_b64 s[10:11], s[12:13]
	s_cbranch_execnz .LBB19_115
.LBB19_36:
	s_or_b64 exec, exec, s[10:11]
	s_and_saveexec_b64 s[10:11], s[6:7]
	s_xor_b64 s[6:7], exec, s[10:11]
	s_cbranch_execz .LBB19_38
.LBB19_37:
	flat_load_ubyte v0, v[0:1]
	s_or_b64 s[8:9], s[8:9], exec
	s_waitcnt vmcnt(0) lgkmcnt(0)
	v_cmp_ne_u16_e32 vcc, 0, v0
	v_cndmask_b32_e64 v2, 0, 1.0, vcc
.LBB19_38:
	s_or_b64 exec, exec, s[6:7]
	s_and_b64 s[6:7], s[8:9], exec
                                        ; implicit-def: $vgpr3
                                        ; implicit-def: $vgpr0_vgpr1
	s_andn2_saveexec_b64 s[4:5], s[4:5]
	s_cbranch_execnz .LBB19_47
.LBB19_39:
	s_or_b64 exec, exec, s[4:5]
                                        ; implicit-def: $vgpr0
	s_and_saveexec_b64 s[10:11], s[6:7]
	s_cbranch_execz .LBB19_88
.LBB19_40:
	s_waitcnt vmcnt(0) lgkmcnt(0)
	v_cmp_ngt_f32_e32 vcc, 0, v2
                                        ; implicit-def: $vgpr0
	s_and_saveexec_b64 s[4:5], vcc
	s_xor_b64 s[12:13], exec, s[4:5]
	s_cbranch_execz .LBB19_124
; %bb.41:
	s_mov_b32 s4, 0x40a00000
	v_cmp_ge_f32_e32 vcc, s4, v2
                                        ; implicit-def: $vgpr0
	s_and_saveexec_b64 s[4:5], vcc
	s_xor_b64 s[4:5], exec, s[4:5]
	s_cbranch_execz .LBB19_43
; %bb.42:
	v_mul_f32_e32 v0, v2, v2
	v_mov_b32_e32 v1, 0xce5691e2
	v_fmac_f32_e32 v1, 0, v0
	v_mov_b32_e32 v3, 0x52d295d0
	v_fmac_f32_e32 v3, v0, v1
	;; [unrolled: 2-line block ×12, first 2 shown]
	v_div_scale_f32 v0, s[6:7], v4, v4, v3
	v_div_scale_f32 v1, vcc, v3, v4, v3
	v_rcp_f32_e32 v5, v0
	v_fma_f32 v6, -v0, v5, 1.0
	v_fmac_f32_e32 v5, v6, v5
	v_mul_f32_e32 v6, v1, v5
	v_fma_f32 v7, -v0, v6, v1
	v_fmac_f32_e32 v6, v7, v5
	v_fma_f32 v0, -v0, v6, v1
	v_div_fmas_f32 v0, v0, v5, v6
	v_mov_b32_e32 v1, 0xc16ae95a
	v_mov_b32_e32 v5, 0xc244dfb3
	v_fmac_f32_e32 v1, v2, v2
	v_fmac_f32_e32 v5, v2, v2
	v_div_fixup_f32 v0, v0, v4, v3
	v_mul_f32_e32 v0, v2, v0
	v_mul_f32_e32 v0, v1, v0
	;; [unrolled: 1-line block ×3, first 2 shown]
                                        ; implicit-def: $vgpr2
.LBB19_43:
	s_andn2_saveexec_b64 s[14:15], s[4:5]
	s_cbranch_execz .LBB19_123
; %bb.44:
	v_add_f32_e32 v0, 0xc016cbe4, v2
	v_and_b32_e32 v1, 0x7fffffff, v0
	s_brev_b32 s4, 18
	v_cmp_nlt_f32_e64 s[16:17], |v0|, s4
	v_lshrrev_b32_e32 v7, 23, v1
                                        ; implicit-def: $vgpr3
                                        ; implicit-def: $vgpr4
	s_and_saveexec_b64 s[4:5], s[16:17]
	s_xor_b64 s[18:19], exec, s[4:5]
	s_cbranch_execz .LBB19_116
; %bb.45:
	v_and_b32_e32 v3, 0x7fffff, v1
	v_or_b32_e32 v6, 0x800000, v3
	s_mov_b32 s4, 0xfe5163ab
	v_mad_u64_u32 v[3:4], s[4:5], v6, s4, 0
	v_mov_b32_e32 v5, 0
	s_mov_b32 s4, 0x3c439041
	v_mad_u64_u32 v[8:9], s[4:5], v6, s4, v[4:5]
	s_mov_b32 s4, 0xdb629599
	v_add_u32_e32 v13, 0xffffff88, v7
	v_mov_b32_e32 v4, v9
	v_mad_u64_u32 v[9:10], s[4:5], v6, s4, v[4:5]
	s_mov_b32 s4, 0xf534ddc0
	v_not_b32_e32 v14, 63
	v_mov_b32_e32 v4, v10
	v_mad_u64_u32 v[10:11], s[4:5], v6, s4, v[4:5]
	s_mov_b32 s4, 0xfc2757d1
	v_cmp_lt_u32_e32 vcc, 63, v13
	v_mov_b32_e32 v4, v11
	v_mad_u64_u32 v[11:12], s[4:5], v6, s4, v[4:5]
	v_cndmask_b32_e32 v4, 0, v14, vcc
	v_add_u32_e32 v14, v4, v13
	v_mov_b32_e32 v4, v12
	s_mov_b32 s4, 0x4e441529
	v_mad_u64_u32 v[12:13], s[4:5], v6, s4, v[4:5]
	v_not_b32_e32 v15, 31
	v_cmp_lt_u32_e64 s[4:5], 31, v14
	v_cndmask_b32_e64 v4, 0, v15, s[4:5]
	v_add_u32_e32 v14, v4, v14
	v_mov_b32_e32 v4, v13
	s_mov_b32 s6, 0xa2f9836e
	v_mad_u64_u32 v[4:5], s[6:7], v6, s6, v[4:5]
	v_cmp_lt_u32_e64 s[6:7], 31, v14
	v_cndmask_b32_e64 v6, 0, v15, s[6:7]
	v_cndmask_b32_e32 v13, v12, v10, vcc
	v_cndmask_b32_e32 v4, v4, v11, vcc
	v_cndmask_b32_e32 v5, v5, v12, vcc
	v_add_u32_e32 v6, v6, v14
	v_cndmask_b32_e64 v14, v4, v13, s[4:5]
	v_cndmask_b32_e64 v4, v5, v4, s[4:5]
	v_cndmask_b32_e32 v5, v11, v9, vcc
	v_cndmask_b32_e64 v11, v13, v5, s[4:5]
	v_cndmask_b32_e64 v4, v4, v14, s[6:7]
	;; [unrolled: 1-line block ×3, first 2 shown]
	v_sub_u32_e32 v13, 32, v6
	v_alignbit_b32 v14, v4, v12, v13
	v_cmp_eq_u32_e64 s[8:9], 0, v6
	v_cndmask_b32_e64 v6, v14, v4, s[8:9]
	v_cndmask_b32_e32 v4, v10, v8, vcc
	v_cndmask_b32_e64 v5, v5, v4, s[4:5]
	v_cndmask_b32_e64 v8, v11, v5, s[6:7]
	v_alignbit_b32 v10, v12, v8, v13
	v_cndmask_b32_e32 v3, v9, v3, vcc
	v_cndmask_b32_e64 v10, v10, v12, s[8:9]
	v_bfe_u32 v14, v6, 29, 1
	v_cndmask_b32_e64 v3, v4, v3, s[4:5]
	v_alignbit_b32 v11, v6, v10, 30
	v_sub_u32_e32 v15, 0, v14
	v_cndmask_b32_e64 v3, v5, v3, s[6:7]
	v_xor_b32_e32 v11, v11, v15
	v_alignbit_b32 v4, v8, v3, v13
	v_cndmask_b32_e64 v4, v4, v8, s[8:9]
	v_ffbh_u32_e32 v8, v11
	v_alignbit_b32 v5, v10, v4, 30
	v_min_u32_e32 v8, 32, v8
	v_alignbit_b32 v3, v4, v3, 30
	v_xor_b32_e32 v5, v5, v15
	v_sub_u32_e32 v9, 31, v8
	v_xor_b32_e32 v3, v3, v15
	v_alignbit_b32 v10, v11, v5, v9
	v_alignbit_b32 v3, v5, v3, v9
	;; [unrolled: 1-line block ×3, first 2 shown]
	v_ffbh_u32_e32 v5, v4
	v_min_u32_e32 v5, 32, v5
	v_lshrrev_b32_e32 v12, 29, v6
	v_not_b32_e32 v9, v5
	v_alignbit_b32 v3, v4, v3, v9
	v_lshlrev_b32_e32 v4, 31, v12
	v_or_b32_e32 v9, 0x33000000, v4
	v_add_lshl_u32 v5, v5, v8, 23
	v_lshrrev_b32_e32 v3, 9, v3
	v_sub_u32_e32 v5, v9, v5
	v_or_b32_e32 v4, 0.5, v4
	v_lshlrev_b32_e32 v8, 23, v8
	v_or_b32_e32 v3, v5, v3
	v_lshrrev_b32_e32 v5, 9, v10
	v_sub_u32_e32 v4, v4, v8
	v_or_b32_e32 v4, v5, v4
	s_mov_b32 s4, 0x3fc90fda
	v_mul_f32_e32 v5, 0x3fc90fda, v4
	v_fma_f32 v8, v4, s4, -v5
	v_fmac_f32_e32 v8, 0x33a22168, v4
	v_fmac_f32_e32 v8, 0x3fc90fda, v3
	v_lshrrev_b32_e32 v3, 30, v6
	v_add_f32_e32 v4, v5, v8
	v_add_u32_e32 v3, v14, v3
	s_andn2_saveexec_b64 s[4:5], s[18:19]
	s_cbranch_execz .LBB19_118
	s_branch .LBB19_117
.LBB19_46:
	s_andn2_saveexec_b64 s[4:5], s[4:5]
	s_cbranch_execz .LBB19_39
.LBB19_47:
	v_mov_b32_e32 v2, 4
	v_cmp_gt_i16_sdwa s[8:9], v3, v2 src0_sel:BYTE_0 src1_sel:DWORD
                                        ; implicit-def: $vgpr2
	s_and_saveexec_b64 s[10:11], s[8:9]
	s_xor_b64 s[8:9], exec, s[10:11]
	s_cbranch_execz .LBB19_69
; %bb.48:
	v_mov_b32_e32 v2, 7
	v_cmp_gt_i16_sdwa s[10:11], v3, v2 src0_sel:BYTE_0 src1_sel:DWORD
                                        ; implicit-def: $vgpr2
	s_and_saveexec_b64 s[12:13], s[10:11]
	s_xor_b64 s[10:11], exec, s[12:13]
	s_cbranch_execz .LBB19_58
; %bb.49:
	;; [unrolled: 7-line block ×4, first 2 shown]
	flat_load_dwordx2 v[0:1], v[0:1]
	s_waitcnt vmcnt(0) lgkmcnt(0)
	v_cvt_f32_f64_e32 v2, v[0:1]
                                        ; implicit-def: $vgpr0_vgpr1
.LBB19_52:
	s_andn2_saveexec_b64 s[14:15], s[14:15]
	s_cbranch_execz .LBB19_54
; %bb.53:
	flat_load_dword v2, v[0:1]
.LBB19_54:
	s_or_b64 exec, exec, s[14:15]
                                        ; implicit-def: $vgpr0_vgpr1
.LBB19_55:
	s_andn2_saveexec_b64 s[12:13], s[12:13]
	s_cbranch_execz .LBB19_57
; %bb.56:
	flat_load_dword v0, v[0:1]
	s_waitcnt vmcnt(0) lgkmcnt(0)
	v_cvt_f32_f16_e32 v2, v0
.LBB19_57:
	s_or_b64 exec, exec, s[12:13]
                                        ; implicit-def: $vgpr0_vgpr1
                                        ; implicit-def: $vgpr3
.LBB19_58:
	s_andn2_saveexec_b64 s[10:11], s[10:11]
	s_cbranch_execz .LBB19_68
; %bb.59:
	s_waitcnt vmcnt(0) lgkmcnt(0)
	v_mov_b32_e32 v2, 5
	v_cmp_gt_i16_sdwa s[12:13], v3, v2 src0_sel:BYTE_0 src1_sel:DWORD
                                        ; implicit-def: $vgpr2
	s_and_saveexec_b64 s[14:15], s[12:13]
	s_xor_b64 s[12:13], exec, s[14:15]
	s_cbranch_execz .LBB19_65
; %bb.60:
	v_mov_b32_e32 v2, 6
	v_cmp_gt_i16_sdwa s[14:15], v3, v2 src0_sel:BYTE_0 src1_sel:DWORD
                                        ; implicit-def: $vgpr2
	s_and_saveexec_b64 s[16:17], s[14:15]
	s_xor_b64 s[14:15], exec, s[16:17]
	s_cbranch_execz .LBB19_62
; %bb.61:
	flat_load_dwordx2 v[0:1], v[0:1]
	s_waitcnt vmcnt(0) lgkmcnt(0)
	v_cvt_f32_f64_e32 v2, v[0:1]
                                        ; implicit-def: $vgpr0_vgpr1
.LBB19_62:
	s_andn2_saveexec_b64 s[14:15], s[14:15]
	s_cbranch_execz .LBB19_64
; %bb.63:
	flat_load_dword v2, v[0:1]
.LBB19_64:
	s_or_b64 exec, exec, s[14:15]
                                        ; implicit-def: $vgpr0_vgpr1
.LBB19_65:
	s_andn2_saveexec_b64 s[12:13], s[12:13]
	s_cbranch_execz .LBB19_67
; %bb.66:
	flat_load_ushort v0, v[0:1]
	s_waitcnt vmcnt(0) lgkmcnt(0)
	v_cvt_f32_f16_e32 v2, v0
.LBB19_67:
	s_or_b64 exec, exec, s[12:13]
.LBB19_68:
	s_or_b64 exec, exec, s[10:11]
                                        ; implicit-def: $vgpr3
                                        ; implicit-def: $vgpr0_vgpr1
.LBB19_69:
	s_andn2_saveexec_b64 s[8:9], s[8:9]
	s_cbranch_execz .LBB19_87
; %bb.70:
	s_waitcnt vmcnt(0) lgkmcnt(0)
	v_mov_b32_e32 v2, 1
	v_cmp_gt_i16_sdwa s[10:11], v3, v2 src0_sel:BYTE_0 src1_sel:DWORD
                                        ; implicit-def: $vgpr2
	s_and_saveexec_b64 s[12:13], s[10:11]
	s_xor_b64 s[10:11], exec, s[12:13]
	s_cbranch_execz .LBB19_80
; %bb.71:
	v_mov_b32_e32 v2, 2
	v_cmp_gt_i16_sdwa s[12:13], v3, v2 src0_sel:BYTE_0 src1_sel:DWORD
                                        ; implicit-def: $vgpr2
	s_and_saveexec_b64 s[14:15], s[12:13]
	s_xor_b64 s[12:13], exec, s[14:15]
	s_cbranch_execz .LBB19_77
; %bb.72:
	;; [unrolled: 7-line block ×3, first 2 shown]
	flat_load_dwordx2 v[0:1], v[0:1]
	s_waitcnt vmcnt(0) lgkmcnt(0)
	v_xor_b32_e32 v3, v0, v1
	v_ffbh_i32_e32 v2, v1
	v_ashrrev_i32_e32 v3, 31, v3
	v_add_u32_e32 v2, -1, v2
	v_add_u32_e32 v3, 32, v3
	v_min_u32_e32 v2, v2, v3
	v_lshlrev_b64 v[0:1], v2, v[0:1]
	v_min_u32_e32 v0, 1, v0
	v_or_b32_e32 v0, v1, v0
	v_cvt_f32_i32_e32 v0, v0
	v_sub_u32_e32 v1, 32, v2
	v_ldexp_f32 v2, v0, v1
                                        ; implicit-def: $vgpr0_vgpr1
.LBB19_74:
	s_andn2_saveexec_b64 s[14:15], s[14:15]
	s_cbranch_execz .LBB19_76
; %bb.75:
	flat_load_dword v0, v[0:1]
	s_waitcnt vmcnt(0) lgkmcnt(0)
	v_cvt_f32_i32_e32 v2, v0
.LBB19_76:
	s_or_b64 exec, exec, s[14:15]
                                        ; implicit-def: $vgpr0_vgpr1
.LBB19_77:
	s_andn2_saveexec_b64 s[12:13], s[12:13]
	s_cbranch_execz .LBB19_79
; %bb.78:
	flat_load_sshort v0, v[0:1]
	s_waitcnt vmcnt(0) lgkmcnt(0)
	v_cvt_f32_i32_e32 v2, v0
.LBB19_79:
	s_or_b64 exec, exec, s[12:13]
                                        ; implicit-def: $vgpr0_vgpr1
                                        ; implicit-def: $vgpr3
.LBB19_80:
	s_andn2_saveexec_b64 s[10:11], s[10:11]
	s_cbranch_execz .LBB19_86
; %bb.81:
	v_mov_b32_e32 v2, 0
	v_cmp_gt_i16_sdwa s[12:13], v3, v2 src0_sel:BYTE_0 src1_sel:DWORD
                                        ; implicit-def: $vgpr2
	s_and_saveexec_b64 s[14:15], s[12:13]
	s_xor_b64 s[12:13], exec, s[14:15]
	s_cbranch_execz .LBB19_83
; %bb.82:
	flat_load_sbyte v0, v[0:1]
	s_waitcnt vmcnt(0) lgkmcnt(0)
	v_cvt_f32_i32_e32 v2, v0
                                        ; implicit-def: $vgpr0_vgpr1
.LBB19_83:
	s_andn2_saveexec_b64 s[12:13], s[12:13]
	s_cbranch_execz .LBB19_85
; %bb.84:
	flat_load_ubyte v0, v[0:1]
	s_waitcnt vmcnt(0) lgkmcnt(0)
	v_cvt_f32_ubyte0_e32 v2, v0
.LBB19_85:
	s_or_b64 exec, exec, s[12:13]
.LBB19_86:
	s_or_b64 exec, exec, s[10:11]
.LBB19_87:
	s_or_b64 exec, exec, s[8:9]
	s_or_b64 s[6:7], s[6:7], exec
	s_or_b64 exec, exec, s[4:5]
                                        ; implicit-def: $vgpr0
	s_and_saveexec_b64 s[10:11], s[6:7]
	s_cbranch_execnz .LBB19_40
.LBB19_88:
	s_or_b64 exec, exec, s[10:11]
	s_waitcnt vmcnt(0) lgkmcnt(0)
	s_setpc_b64 s[30:31]
.LBB19_89:
	s_andn2_saveexec_b64 s[10:11], s[10:11]
	s_cbranch_execz .LBB19_35
.LBB19_90:
	v_mov_b32_e32 v2, 22
	v_cmp_gt_i16_sdwa s[6:7], v3, v2 src0_sel:BYTE_0 src1_sel:DWORD
	s_mov_b64 s[14:15], s[8:9]
                                        ; implicit-def: $vgpr2
	s_and_saveexec_b64 s[16:17], s[6:7]
	s_xor_b64 s[6:7], exec, s[16:17]
	s_cbranch_execz .LBB19_106
; %bb.91:
	v_mov_b32_e32 v2, 23
	v_cmp_gt_i16_sdwa s[14:15], v3, v2 src0_sel:BYTE_0 src1_sel:DWORD
                                        ; implicit-def: $vgpr2
	s_and_saveexec_b64 s[16:17], s[14:15]
	s_xor_b64 s[14:15], exec, s[16:17]
	s_cbranch_execz .LBB19_103
; %bb.92:
	v_mov_b32_e32 v2, 24
	v_cmp_gt_i16_sdwa s[16:17], v3, v2 src0_sel:BYTE_0 src1_sel:DWORD
                                        ; implicit-def: $vgpr2
	s_and_saveexec_b64 s[18:19], s[16:17]
	s_xor_b64 s[16:17], exec, s[18:19]
	s_cbranch_execz .LBB19_100
; %bb.93:
	flat_load_ubyte v3, v[0:1]
	s_movk_i32 s18, 0x7f
	s_waitcnt vmcnt(0) lgkmcnt(0)
	v_cmp_lt_i16_e32 vcc, s18, v3
	s_mov_b64 s[18:19], 0
	s_and_saveexec_b64 s[20:21], vcc
	s_xor_b64 s[20:21], exec, s[20:21]
	s_cbranch_execz .LBB19_141
; %bb.94:
	s_movk_i32 s18, 0x80
	v_cmp_eq_u16_e32 vcc, s18, v3
	s_mov_b64 s[18:19], -1
	s_and_saveexec_b64 s[22:23], vcc
; %bb.95:
	s_xor_b64 s[18:19], exec, -1
; %bb.96:
	s_or_b64 exec, exec, s[22:23]
	s_and_b64 s[18:19], s[18:19], exec
	s_or_saveexec_b64 s[20:21], s[20:21]
	v_mov_b32_e32 v2, 0x7f800001
	s_xor_b64 exec, exec, s[20:21]
	s_cbranch_execnz .LBB19_142
.LBB19_97:
	s_or_b64 exec, exec, s[20:21]
	s_and_saveexec_b64 s[20:21], s[18:19]
	s_cbranch_execz .LBB19_99
.LBB19_98:
	v_lshlrev_b32_e32 v2, 24, v3
	v_and_b32_e32 v3, 0xffff, v3
	v_and_b32_e32 v4, 3, v3
	v_ffbh_u32_e32 v6, v4
	v_min_u32_e32 v6, 32, v6
	v_subrev_u32_e32 v7, 29, v6
	v_bfe_u32 v5, v3, 2, 5
	v_lshlrev_b32_e32 v3, v7, v3
	v_sub_u32_e32 v6, 30, v6
	v_and_b32_e32 v3, 3, v3
	v_cmp_eq_u32_e32 vcc, 0, v5
	v_cndmask_b32_e32 v5, v5, v6, vcc
	v_cndmask_b32_e32 v3, v4, v3, vcc
	v_mov_b32_e32 v4, 0x37800000
	v_lshlrev_b32_e32 v3, 21, v3
	v_and_b32_e32 v2, 0x80000000, v2
	v_lshl_add_u32 v4, v5, 23, v4
	v_or3_b32 v2, v2, v4, v3
.LBB19_99:
	s_or_b64 exec, exec, s[20:21]
.LBB19_100:
	s_andn2_saveexec_b64 s[16:17], s[16:17]
	s_cbranch_execz .LBB19_102
; %bb.101:
	flat_load_ubyte v2, v[0:1]
	s_mov_b32 s18, 0x7f800000
	s_waitcnt vmcnt(0) lgkmcnt(0)
	v_lshlrev_b32_e32 v2, 24, v2
	v_and_b32_e32 v3, 0x7f000000, v2
	v_ffbh_u32_e32 v4, v3
	v_min_u32_e32 v4, 32, v4
	v_sub_u32_e64 v4, v4, 4 clamp
	v_lshlrev_b32_e32 v6, v4, v3
	v_lshlrev_b32_e32 v4, 23, v4
	v_lshrrev_b32_e32 v6, 4, v6
	v_add_u32_e32 v5, 0x1000000, v3
	v_sub_u32_e32 v4, v6, v4
	v_ashrrev_i32_e32 v5, 8, v5
	v_add_u32_e32 v4, 0x3c000000, v4
	v_and_or_b32 v4, v5, s18, v4
	v_cmp_ne_u32_e32 vcc, 0, v3
	v_cndmask_b32_e32 v3, 0, v4, vcc
	s_brev_b32 s18, 1
	v_and_or_b32 v2, v2, s18, v3
.LBB19_102:
	s_or_b64 exec, exec, s[16:17]
.LBB19_103:
	s_andn2_saveexec_b64 s[14:15], s[14:15]
	s_cbranch_execz .LBB19_105
; %bb.104:
	flat_load_ubyte v2, v[0:1]
	s_movk_i32 s16, 0x7f00
	s_brev_b32 s17, 16
	s_waitcnt vmcnt(0) lgkmcnt(0)
	v_lshlrev_b16_e32 v3, 8, v2
	v_lshlrev_b32_e32 v2, 25, v2
	v_lshrrev_b32_e32 v4, 4, v2
	v_and_or_b32 v5, v3, s16, 0.5
	v_or_b32_e32 v4, 0x70000000, v4
	v_add_f32_e32 v5, -0.5, v5
	v_mul_f32_e32 v4, 0x7800000, v4
	v_cmp_gt_u32_e32 vcc, s17, v2
	v_bfe_i32 v3, v3, 0, 16
	v_cndmask_b32_e32 v2, v4, v5, vcc
	s_brev_b32 s16, 1
	v_and_or_b32 v2, v3, s16, v2
.LBB19_105:
	s_or_b64 exec, exec, s[14:15]
	s_or_b64 s[14:15], s[8:9], exec
                                        ; implicit-def: $vgpr3
.LBB19_106:
	s_or_saveexec_b64 s[6:7], s[6:7]
	s_mov_b64 s[18:19], 0
	s_mov_b64 s[16:17], s[12:13]
	s_xor_b64 exec, exec, s[6:7]
	s_cbranch_execz .LBB19_114
; %bb.107:
	v_mov_b32_e32 v2, 14
	v_cmp_gt_i16_sdwa s[20:21], v3, v2 src0_sel:BYTE_0 src1_sel:DWORD
	s_mov_b64 s[16:17], s[12:13]
	s_mov_b64 s[18:19], s[14:15]
                                        ; implicit-def: $vgpr2
	s_and_saveexec_b64 s[22:23], s[20:21]
	s_xor_b64 s[20:21], exec, s[22:23]
	s_cbranch_execz .LBB19_111
; %bb.108:
	v_mov_b32_e32 v2, 15
	v_cmp_eq_u16_sdwa s[24:25], v3, v2 src0_sel:BYTE_0 src1_sel:DWORD
	s_mov_b64 s[16:17], -1
	s_mov_b64 s[18:19], s[14:15]
                                        ; implicit-def: $vgpr2
	s_and_saveexec_b64 s[22:23], s[24:25]
	s_cbranch_execz .LBB19_110
; %bb.109:
	flat_load_ushort v2, v[0:1]
	s_or_b64 s[18:19], s[14:15], exec
	s_xor_b64 s[16:17], exec, -1
	s_waitcnt vmcnt(0) lgkmcnt(0)
	v_lshlrev_b32_e32 v2, 16, v2
.LBB19_110:
	s_or_b64 exec, exec, s[22:23]
	s_andn2_b64 s[22:23], s[14:15], exec
	s_and_b64 s[18:19], s[18:19], exec
	s_or_b64 s[18:19], s[22:23], s[18:19]
	s_andn2_b64 s[22:23], s[12:13], exec
	s_and_b64 s[16:17], s[16:17], exec
	s_or_b64 s[16:17], s[22:23], s[16:17]
                                        ; implicit-def: $vgpr3
.LBB19_111:
	s_or_saveexec_b64 s[20:21], s[20:21]
	s_mov_b64 s[22:23], 0
	s_xor_b64 exec, exec, s[20:21]
; %bb.112:
	v_mov_b32_e32 v4, 11
	v_cmp_ne_u16_sdwa s[24:25], v3, v4 src0_sel:BYTE_0 src1_sel:DWORD
	s_andn2_b64 s[16:17], s[16:17], exec
	s_and_b64 s[24:25], s[24:25], exec
	s_mov_b64 s[22:23], exec
	s_or_b64 s[16:17], s[16:17], s[24:25]
; %bb.113:
	s_or_b64 exec, exec, s[20:21]
	s_andn2_b64 s[14:15], s[14:15], exec
	s_and_b64 s[18:19], s[18:19], exec
	s_andn2_b64 s[20:21], s[12:13], exec
	s_and_b64 s[16:17], s[16:17], exec
	s_or_b64 s[14:15], s[14:15], s[18:19]
	s_and_b64 s[18:19], s[22:23], exec
	s_or_b64 s[16:17], s[20:21], s[16:17]
.LBB19_114:
	s_or_b64 exec, exec, s[6:7]
	s_andn2_b64 s[6:7], s[8:9], exec
	s_and_b64 s[8:9], s[14:15], exec
	s_andn2_b64 s[12:13], s[12:13], exec
	s_and_b64 s[14:15], s[16:17], exec
	s_or_b64 s[8:9], s[6:7], s[8:9]
	s_and_b64 s[6:7], s[18:19], exec
	s_or_b64 s[12:13], s[12:13], s[14:15]
	s_or_b64 exec, exec, s[10:11]
	s_and_saveexec_b64 s[10:11], s[12:13]
	s_cbranch_execz .LBB19_36
.LBB19_115:
	s_trap 2
	; divergent unreachable
	s_andn2_b64 s[6:7], s[6:7], exec
	s_or_b64 exec, exec, s[10:11]
	s_and_saveexec_b64 s[10:11], s[6:7]
	s_xor_b64 s[6:7], exec, s[10:11]
	s_cbranch_execnz .LBB19_37
	s_branch .LBB19_38
.LBB19_116:
	s_andn2_saveexec_b64 s[4:5], s[18:19]
	s_cbranch_execz .LBB19_118
.LBB19_117:
	s_mov_b32 s6, 0x3f22f983
	v_mul_f32_e64 v3, |v0|, s6
	v_rndne_f32_e32 v5, v3
	s_mov_b32 s6, 0xbfc90fda
	v_cvt_i32_f32_e32 v3, v5
	v_fma_f32 v4, v5, s6, |v0|
	v_fmac_f32_e32 v4, 0xb3a22168, v5
	v_fmac_f32_e32 v4, 0xa7c234c4, v5
.LBB19_118:
	s_or_b64 exec, exec, s[4:5]
                                        ; implicit-def: $vgpr5
                                        ; implicit-def: $vgpr6
	s_and_saveexec_b64 s[4:5], s[16:17]
	s_xor_b64 s[16:17], exec, s[4:5]
	s_cbranch_execz .LBB19_120
; %bb.119:
	v_and_b32_e32 v5, 0x7fffff, v1
	v_or_b32_e32 v14, 0x800000, v5
	s_mov_b32 s4, 0xfe5163ab
	v_mad_u64_u32 v[5:6], s[4:5], v14, s4, 0
	v_mov_b32_e32 v9, 0
	s_mov_b32 s4, 0x3c439041
	v_mov_b32_e32 v8, v6
	v_mad_u64_u32 v[10:11], s[4:5], v14, s4, v[8:9]
	s_mov_b32 s4, 0xdb629599
	v_add_u32_e32 v15, 0xffffff88, v7
	v_mov_b32_e32 v8, v11
	v_mad_u64_u32 v[11:12], s[4:5], v14, s4, v[8:9]
	s_mov_b32 s4, 0xf534ddc0
	v_not_b32_e32 v16, 63
	v_mov_b32_e32 v8, v12
	v_mad_u64_u32 v[12:13], s[4:5], v14, s4, v[8:9]
	s_mov_b32 s4, 0xfc2757d1
	v_cmp_lt_u32_e32 vcc, 63, v15
	v_mov_b32_e32 v8, v13
	v_mad_u64_u32 v[6:7], s[4:5], v14, s4, v[8:9]
	v_cndmask_b32_e32 v8, 0, v16, vcc
	v_add_u32_e32 v13, v8, v15
	v_mov_b32_e32 v8, v7
	s_mov_b32 s4, 0x4e441529
	v_mad_u64_u32 v[7:8], s[4:5], v14, s4, v[8:9]
	v_not_b32_e32 v15, 31
	v_cmp_lt_u32_e64 s[4:5], 31, v13
	s_mov_b32 s6, 0xa2f9836e
	v_cndmask_b32_e64 v16, 0, v15, s[4:5]
	v_mad_u64_u32 v[8:9], s[6:7], v14, s6, v[8:9]
	v_add_u32_e32 v13, v16, v13
	v_cmp_lt_u32_e64 s[6:7], 31, v13
	v_cndmask_b32_e64 v14, 0, v15, s[6:7]
	v_add_u32_e32 v13, v14, v13
	v_cndmask_b32_e32 v14, v7, v12, vcc
	v_cndmask_b32_e32 v8, v8, v6, vcc
	;; [unrolled: 1-line block ×4, first 2 shown]
	v_cndmask_b32_e64 v15, v8, v14, s[4:5]
	v_cndmask_b32_e64 v7, v7, v8, s[4:5]
	v_cndmask_b32_e64 v8, v14, v6, s[4:5]
	v_cndmask_b32_e32 v10, v12, v10, vcc
	v_cndmask_b32_e64 v7, v7, v15, s[6:7]
	v_cndmask_b32_e64 v9, v15, v8, s[6:7]
	v_sub_u32_e32 v14, 32, v13
	v_cndmask_b32_e64 v6, v6, v10, s[4:5]
	v_alignbit_b32 v15, v7, v9, v14
	v_cmp_eq_u32_e64 s[8:9], 0, v13
	v_cndmask_b32_e64 v8, v8, v6, s[6:7]
	v_cndmask_b32_e32 v5, v11, v5, vcc
	v_cndmask_b32_e64 v7, v15, v7, s[8:9]
	v_alignbit_b32 v12, v9, v8, v14
	v_cndmask_b32_e64 v5, v10, v5, s[4:5]
	v_cndmask_b32_e64 v9, v12, v9, s[8:9]
	v_bfe_u32 v15, v7, 29, 1
	v_cndmask_b32_e64 v5, v6, v5, s[6:7]
	v_alignbit_b32 v12, v7, v9, 30
	v_sub_u32_e32 v16, 0, v15
	v_alignbit_b32 v6, v8, v5, v14
	v_xor_b32_e32 v12, v12, v16
	v_cndmask_b32_e64 v6, v6, v8, s[8:9]
	v_alignbit_b32 v8, v9, v6, 30
	v_ffbh_u32_e32 v9, v12
	v_min_u32_e32 v9, 32, v9
	v_alignbit_b32 v5, v6, v5, 30
	v_xor_b32_e32 v8, v8, v16
	v_sub_u32_e32 v10, 31, v9
	v_xor_b32_e32 v5, v5, v16
	v_alignbit_b32 v11, v12, v8, v10
	v_alignbit_b32 v5, v8, v5, v10
	;; [unrolled: 1-line block ×3, first 2 shown]
	v_ffbh_u32_e32 v8, v6
	v_min_u32_e32 v8, 32, v8
	v_lshrrev_b32_e32 v13, 29, v7
	v_not_b32_e32 v10, v8
	v_alignbit_b32 v5, v6, v5, v10
	v_lshlrev_b32_e32 v6, 31, v13
	v_or_b32_e32 v10, 0x33000000, v6
	v_add_lshl_u32 v8, v8, v9, 23
	v_lshrrev_b32_e32 v5, 9, v5
	v_sub_u32_e32 v8, v10, v8
	v_or_b32_e32 v6, 0.5, v6
	v_lshlrev_b32_e32 v9, 23, v9
	v_or_b32_e32 v5, v8, v5
	v_lshrrev_b32_e32 v8, 9, v11
	v_sub_u32_e32 v6, v6, v9
	v_or_b32_e32 v6, v8, v6
	s_mov_b32 s4, 0x3fc90fda
	v_mul_f32_e32 v8, 0x3fc90fda, v6
	v_fma_f32 v9, v6, s4, -v8
	v_fmac_f32_e32 v9, 0x33a22168, v6
	v_fmac_f32_e32 v9, 0x3fc90fda, v5
	v_lshrrev_b32_e32 v5, 30, v7
	v_add_f32_e32 v6, v8, v9
	v_add_u32_e32 v5, v15, v5
	s_andn2_saveexec_b64 s[4:5], s[16:17]
	s_cbranch_execnz .LBB19_121
	s_branch .LBB19_122
.LBB19_120:
	s_andn2_saveexec_b64 s[4:5], s[16:17]
	s_cbranch_execz .LBB19_122
.LBB19_121:
	s_mov_b32 s6, 0x3f22f983
	v_mul_f32_e64 v5, |v0|, s6
	v_rndne_f32_e32 v7, v5
	s_mov_b32 s6, 0xbfc90fda
	v_cvt_i32_f32_e32 v5, v7
	v_fma_f32 v6, v7, s6, |v0|
	v_fmac_f32_e32 v6, 0xb3a22168, v7
	v_fmac_f32_e32 v6, 0xa7c234c4, v7
.LBB19_122:
	s_or_b64 exec, exec, s[4:5]
	s_mov_b32 s6, 0x40a00000
	v_div_scale_f32 v7, s[4:5], v2, v2, s6
	v_div_scale_f32 v8, vcc, s6, v2, s6
	v_mov_b32_e32 v14, 0x3a15c4d9
	v_mov_b32_e32 v15, 0x3d8cfeeb
	;; [unrolled: 1-line block ×7, first 2 shown]
	v_rcp_f32_e32 v9, v7
	v_fma_f32 v10, -v7, v9, 1.0
	v_fmac_f32_e32 v9, v10, v9
	v_mul_f32_e32 v10, v8, v9
	v_fma_f32 v11, -v7, v10, v8
	v_fmac_f32_e32 v10, v11, v9
	v_fma_f32 v7, -v7, v10, v8
	v_div_fmas_f32 v7, v7, v9, v10
	v_mov_b32_e32 v8, 0x3a47c962
	v_mov_b32_e32 v9, 0x3d95ca45
	;; [unrolled: 1-line block ×4, first 2 shown]
	v_div_fixup_f32 v7, v7, v2, s6
	v_mul_f32_e32 v19, v7, v7
	v_fmac_f32_e32 v8, 0, v19
	v_fmac_f32_e32 v9, v19, v8
	v_mov_b32_e32 v8, 0x3d513fd3
	v_fmac_f32_e32 v14, 0, v19
	v_fmac_f32_e32 v15, v19, v14
	v_mov_b32_e32 v14, 0x409f6dae
	v_fmac_f32_e32 v8, 0, v19
	v_fmac_f32_e32 v14, v19, v8
	;; [unrolled: 1-line block ×3, first 2 shown]
	v_mov_b32_e32 v9, 0x4297a5cd
	v_fmac_f32_e32 v16, v19, v15
	v_mov_b32_e32 v15, 0x43b763ca
	v_fmac_f32_e32 v9, v19, v14
	;; [unrolled: 2-line block ×3, first 2 shown]
	v_fmac_f32_e32 v17, v19, v16
	v_fmac_f32_e32 v15, v19, v9
	v_mov_b32_e32 v8, 0x40a6b6ea
	v_mov_b32_e32 v10, 0x44155f56
	v_fmac_f32_e32 v12, v19, v11
	v_fmac_f32_e32 v18, v19, v17
	;; [unrolled: 1-line block ×6, first 2 shown]
	v_mov_b32_e32 v9, 0x4353b052
	v_fma_f32 v8, v19, v8, 1.0
	v_fmac_f32_e32 v9, v19, v10
	v_fma_f32 v10, v19, v13, 1.0
	v_div_scale_f32 v11, s[4:5], v8, v8, v10
	v_div_scale_f32 v13, vcc, v10, v8, v10
	v_mov_b32_e32 v12, 0x41c9a7fa
	v_fmac_f32_e32 v12, v19, v9
	v_mov_b32_e32 v9, 0x42947983
	v_fmac_f32_e32 v9, 0, v19
	;; [unrolled: 2-line block ×6, first 2 shown]
	v_rcp_f32_e32 v15, v11
	v_mov_b32_e32 v14, 0x4530a316
	v_fmac_f32_e32 v14, v19, v9
	v_mov_b32_e32 v9, 0x43a80bfb
	v_fmac_f32_e32 v9, v19, v14
	v_fma_f32 v14, -v11, v15, 1.0
	v_fmac_f32_e32 v15, v14, v15
	v_mul_f32_e32 v14, v13, v15
	v_fma_f32 v16, -v11, v14, v13
	v_fmac_f32_e32 v14, v16, v15
	v_fma_f32 v11, -v11, v14, v13
	v_div_fmas_f32 v11, v11, v15, v14
	v_div_scale_f32 v13, s[4:5], v9, v9, v12
	v_div_scale_f32 v14, vcc, v12, v9, v12
	v_mul_f32_e32 v15, v4, v4
	v_mov_b32_e32 v17, 0x3c0881c4
	v_mov_b32_e32 v18, 0xbe2aaa9d
	v_fmac_f32_e32 v17, 0xb94c1982, v15
	v_mov_b32_e32 v16, 0x3c0881c4
	s_movk_i32 s4, 0x1f8
	v_div_fixup_f32 v8, v11, v8, v10
	v_rcp_f32_e32 v11, v13
	v_fma_f32 v10, v15, v17, v18
	v_mul_f32_e32 v10, v15, v10
	v_fmac_f32_e32 v4, v4, v10
	v_fma_f32 v17, -v13, v11, 1.0
	v_fmac_f32_e32 v11, v17, v11
	v_mul_f32_e32 v17, v14, v11
	v_fma_f32 v19, -v13, v17, v14
	v_fmac_f32_e32 v17, v19, v11
	v_fma_f32 v13, -v13, v17, v14
	v_div_fmas_f32 v11, v13, v11, v17
	v_mov_b32_e32 v19, 0xbab64f3b
	v_fmac_f32_e32 v19, 0x37d75334, v15
	v_mov_b32_e32 v13, 0x3d2aabf7
	v_mov_b32_e32 v10, 0xbab64f3b
	v_fma_f32 v14, v15, v19, v13
	v_mov_b32_e32 v17, 0xbf000004
	v_fma_f32 v14, v15, v14, v17
	v_fma_f32 v14, v15, v14, 1.0
	v_and_b32_e32 v15, 1, v3
	v_cmp_eq_u32_e32 vcc, 0, v15
	v_cndmask_b32_e64 v4, -v4, v14, vcc
	v_lshlrev_b32_e32 v3, 30, v3
	v_cmp_class_f32_e64 vcc, v0, s4
	v_xor_b32_e32 v0, v1, v0
	v_and_b32_e32 v3, 0x80000000, v3
	v_div_fixup_f32 v9, v11, v9, v12
	v_mul_f32_e32 v7, v7, v9
	v_mul_f32_e32 v9, v6, v6
	v_fmac_f32_e32 v16, 0xb94c1982, v9
	v_fmac_f32_e32 v10, 0x37d75334, v9
	;; [unrolled: 1-line block ×4, first 2 shown]
	v_mul_f32_e32 v11, v9, v18
	v_fmac_f32_e32 v17, v9, v13
	v_and_b32_e32 v10, 1, v5
	v_lshlrev_b32_e32 v5, 30, v5
	v_fmac_f32_e32 v6, v6, v11
	v_fma_f32 v9, v9, v17, 1.0
	v_cmp_eq_u32_e64 s[4:5], 0, v10
	v_and_b32_e32 v5, 0x80000000, v5
	v_cndmask_b32_e64 v6, v9, v6, s[4:5]
	v_xor_b32_e32 v0, v0, v5
	v_xor_b32_e32 v3, v3, v4
	v_mov_b32_e32 v4, 0x7fc00000
	v_xor_b32_e32 v0, v0, v6
	s_mov_b32 s4, 0xf800000
	v_cndmask_b32_e32 v3, v4, v3, vcc
	v_cndmask_b32_e32 v0, v4, v0, vcc
	v_mul_f32_e32 v1, 0x4f800000, v2
	v_cmp_gt_f32_e32 vcc, s4, v2
	v_cndmask_b32_e32 v1, v2, v1, vcc
	v_sqrt_f32_e32 v2, v1
	v_mul_f32_e32 v0, v7, v0
	v_fma_f32 v0, v8, v3, -v0
	v_mul_f32_e32 v0, 0x3f4c422a, v0
	v_add_u32_e32 v3, -1, v2
	v_fma_f32 v4, -v3, v2, v1
	v_cmp_ge_f32_e64 s[4:5], 0, v4
	v_add_u32_e32 v4, 1, v2
	v_cndmask_b32_e64 v3, v2, v3, s[4:5]
	v_fma_f32 v2, -v4, v2, v1
	v_cmp_lt_f32_e64 s[4:5], 0, v2
	v_cndmask_b32_e64 v2, v3, v4, s[4:5]
	v_mul_f32_e32 v3, 0x37800000, v2
	v_cndmask_b32_e32 v2, v2, v3, vcc
	v_mov_b32_e32 v3, 0x260
	v_cmp_class_f32_e32 vcc, v1, v3
	v_cndmask_b32_e32 v1, v2, v1, vcc
	v_div_scale_f32 v2, s[4:5], v1, v1, v0
	v_div_scale_f32 v3, vcc, v0, v1, v0
	v_rcp_f32_e32 v4, v2
	v_fma_f32 v5, -v2, v4, 1.0
	v_fmac_f32_e32 v4, v5, v4
	v_mul_f32_e32 v5, v3, v4
	v_fma_f32 v6, -v2, v5, v3
	v_fmac_f32_e32 v5, v6, v4
	v_fma_f32 v2, -v2, v5, v3
	v_div_fmas_f32 v2, v2, v4, v5
	v_div_fixup_f32 v0, v2, v1, v0
.LBB19_123:
	s_or_b64 exec, exec, s[14:15]
                                        ; implicit-def: $vgpr2
.LBB19_124:
	s_andn2_saveexec_b64 s[12:13], s[12:13]
	s_cbranch_execz .LBB19_138
; %bb.125:
	s_mov_b32 s4, 0xc0a00000
	v_cmp_le_f32_e32 vcc, s4, v2
                                        ; implicit-def: $vgpr0
	s_and_saveexec_b64 s[4:5], vcc
	s_xor_b64 s[4:5], exec, s[4:5]
	s_cbranch_execz .LBB19_127
; %bb.126:
	v_mul_f32_e32 v0, v2, v2
	v_mov_b32_e32 v1, 0xce5691e2
	v_fmac_f32_e32 v1, 0, v0
	v_mov_b32_e32 v3, 0x52d295d0
	v_fmac_f32_e32 v3, v0, v1
	;; [unrolled: 2-line block ×12, first 2 shown]
	v_div_scale_f32 v0, s[6:7], v4, v4, v3
	v_div_scale_f32 v1, vcc, v3, v4, v3
	v_rcp_f32_e32 v5, v0
	v_fma_f32 v6, -v0, v5, 1.0
	v_fmac_f32_e32 v5, v6, v5
	v_mul_f32_e32 v6, v1, v5
	v_fma_f32 v7, -v0, v6, v1
	v_fmac_f32_e32 v6, v7, v5
	v_fma_f32 v0, -v0, v6, v1
	v_div_fmas_f32 v0, v0, v5, v6
	v_mov_b32_e32 v1, 0xc16ae95a
	v_mov_b32_e32 v5, 0xc244dfb3
	v_fmac_f32_e32 v1, v2, v2
	v_fmac_f32_e32 v5, v2, v2
	v_div_fixup_f32 v0, v0, v4, v3
	v_mul_f32_e64 v0, v0, -v2
	v_mul_f32_e32 v0, v1, v0
	v_mul_f32_e32 v0, v5, v0
                                        ; implicit-def: $vgpr2
.LBB19_127:
	s_andn2_saveexec_b64 s[14:15], s[4:5]
	s_cbranch_execz .LBB19_137
; %bb.128:
	v_sub_f32_e32 v0, 0xc016cbe4, v2
	v_and_b32_e32 v1, 0x7fffffff, v0
	s_brev_b32 s4, 18
	v_cmp_nlt_f32_e64 s[16:17], |v0|, s4
	v_lshrrev_b32_e32 v7, 23, v1
                                        ; implicit-def: $vgpr3
                                        ; implicit-def: $vgpr4
	s_and_saveexec_b64 s[4:5], s[16:17]
	s_xor_b64 s[18:19], exec, s[4:5]
	s_cbranch_execz .LBB19_130
; %bb.129:
	v_and_b32_e32 v3, 0x7fffff, v1
	v_or_b32_e32 v6, 0x800000, v3
	s_mov_b32 s4, 0xfe5163ab
	v_mad_u64_u32 v[3:4], s[4:5], v6, s4, 0
	v_mov_b32_e32 v5, 0
	s_mov_b32 s4, 0x3c439041
	v_mad_u64_u32 v[8:9], s[4:5], v6, s4, v[4:5]
	s_mov_b32 s4, 0xdb629599
	v_add_u32_e32 v13, 0xffffff88, v7
	v_mov_b32_e32 v4, v9
	v_mad_u64_u32 v[9:10], s[4:5], v6, s4, v[4:5]
	s_mov_b32 s4, 0xf534ddc0
	v_not_b32_e32 v14, 63
	v_mov_b32_e32 v4, v10
	v_mad_u64_u32 v[10:11], s[4:5], v6, s4, v[4:5]
	s_mov_b32 s4, 0xfc2757d1
	v_cmp_lt_u32_e32 vcc, 63, v13
	v_mov_b32_e32 v4, v11
	v_mad_u64_u32 v[11:12], s[4:5], v6, s4, v[4:5]
	v_cndmask_b32_e32 v4, 0, v14, vcc
	v_add_u32_e32 v14, v4, v13
	v_mov_b32_e32 v4, v12
	s_mov_b32 s4, 0x4e441529
	v_mad_u64_u32 v[12:13], s[4:5], v6, s4, v[4:5]
	v_not_b32_e32 v15, 31
	v_cmp_lt_u32_e64 s[4:5], 31, v14
	v_cndmask_b32_e64 v4, 0, v15, s[4:5]
	v_add_u32_e32 v14, v4, v14
	v_mov_b32_e32 v4, v13
	s_mov_b32 s6, 0xa2f9836e
	v_mad_u64_u32 v[4:5], s[6:7], v6, s6, v[4:5]
	v_cmp_lt_u32_e64 s[6:7], 31, v14
	v_cndmask_b32_e64 v6, 0, v15, s[6:7]
	v_cndmask_b32_e32 v13, v12, v10, vcc
	v_cndmask_b32_e32 v4, v4, v11, vcc
	;; [unrolled: 1-line block ×3, first 2 shown]
	v_add_u32_e32 v6, v6, v14
	v_cndmask_b32_e64 v14, v4, v13, s[4:5]
	v_cndmask_b32_e64 v4, v5, v4, s[4:5]
	v_cndmask_b32_e32 v5, v11, v9, vcc
	v_cndmask_b32_e64 v11, v13, v5, s[4:5]
	v_cndmask_b32_e64 v4, v4, v14, s[6:7]
	;; [unrolled: 1-line block ×3, first 2 shown]
	v_sub_u32_e32 v13, 32, v6
	v_alignbit_b32 v14, v4, v12, v13
	v_cmp_eq_u32_e64 s[8:9], 0, v6
	v_cndmask_b32_e64 v6, v14, v4, s[8:9]
	v_cndmask_b32_e32 v4, v10, v8, vcc
	v_cndmask_b32_e64 v5, v5, v4, s[4:5]
	v_cndmask_b32_e64 v8, v11, v5, s[6:7]
	v_alignbit_b32 v10, v12, v8, v13
	v_cndmask_b32_e32 v3, v9, v3, vcc
	v_cndmask_b32_e64 v10, v10, v12, s[8:9]
	v_bfe_u32 v14, v6, 29, 1
	v_cndmask_b32_e64 v3, v4, v3, s[4:5]
	v_alignbit_b32 v11, v6, v10, 30
	v_sub_u32_e32 v15, 0, v14
	v_cndmask_b32_e64 v3, v5, v3, s[6:7]
	v_xor_b32_e32 v11, v11, v15
	v_alignbit_b32 v4, v8, v3, v13
	v_cndmask_b32_e64 v4, v4, v8, s[8:9]
	v_ffbh_u32_e32 v8, v11
	v_alignbit_b32 v5, v10, v4, 30
	v_min_u32_e32 v8, 32, v8
	v_alignbit_b32 v3, v4, v3, 30
	v_xor_b32_e32 v5, v5, v15
	v_sub_u32_e32 v9, 31, v8
	v_xor_b32_e32 v3, v3, v15
	v_alignbit_b32 v10, v11, v5, v9
	v_alignbit_b32 v3, v5, v3, v9
	;; [unrolled: 1-line block ×3, first 2 shown]
	v_ffbh_u32_e32 v5, v4
	v_min_u32_e32 v5, 32, v5
	v_lshrrev_b32_e32 v12, 29, v6
	v_not_b32_e32 v9, v5
	v_alignbit_b32 v3, v4, v3, v9
	v_lshlrev_b32_e32 v4, 31, v12
	v_or_b32_e32 v9, 0x33000000, v4
	v_add_lshl_u32 v5, v5, v8, 23
	v_lshrrev_b32_e32 v3, 9, v3
	v_sub_u32_e32 v5, v9, v5
	v_or_b32_e32 v4, 0.5, v4
	v_lshlrev_b32_e32 v8, 23, v8
	v_or_b32_e32 v3, v5, v3
	v_lshrrev_b32_e32 v5, 9, v10
	v_sub_u32_e32 v4, v4, v8
	v_or_b32_e32 v4, v5, v4
	s_mov_b32 s4, 0x3fc90fda
	v_mul_f32_e32 v5, 0x3fc90fda, v4
	v_fma_f32 v8, v4, s4, -v5
	v_fmac_f32_e32 v8, 0x33a22168, v4
	v_fmac_f32_e32 v8, 0x3fc90fda, v3
	v_lshrrev_b32_e32 v3, 30, v6
	v_add_f32_e32 v4, v5, v8
	v_add_u32_e32 v3, v14, v3
	s_andn2_saveexec_b64 s[4:5], s[18:19]
	s_cbranch_execz .LBB19_132
	s_branch .LBB19_131
.LBB19_130:
	s_andn2_saveexec_b64 s[4:5], s[18:19]
	s_cbranch_execz .LBB19_132
.LBB19_131:
	s_mov_b32 s6, 0x3f22f983
	v_mul_f32_e64 v3, |v0|, s6
	v_rndne_f32_e32 v5, v3
	s_mov_b32 s6, 0xbfc90fda
	v_cvt_i32_f32_e32 v3, v5
	v_fma_f32 v4, v5, s6, |v0|
	v_fmac_f32_e32 v4, 0xb3a22168, v5
	v_fmac_f32_e32 v4, 0xa7c234c4, v5
.LBB19_132:
	s_or_b64 exec, exec, s[4:5]
                                        ; implicit-def: $vgpr5
                                        ; implicit-def: $vgpr6
	s_and_saveexec_b64 s[4:5], s[16:17]
	s_xor_b64 s[16:17], exec, s[4:5]
	s_cbranch_execz .LBB19_134
; %bb.133:
	v_and_b32_e32 v5, 0x7fffff, v1
	v_or_b32_e32 v14, 0x800000, v5
	s_mov_b32 s4, 0xfe5163ab
	v_mad_u64_u32 v[5:6], s[4:5], v14, s4, 0
	v_mov_b32_e32 v9, 0
	s_mov_b32 s4, 0x3c439041
	v_mov_b32_e32 v8, v6
	v_mad_u64_u32 v[10:11], s[4:5], v14, s4, v[8:9]
	s_mov_b32 s4, 0xdb629599
	v_add_u32_e32 v15, 0xffffff88, v7
	v_mov_b32_e32 v8, v11
	v_mad_u64_u32 v[11:12], s[4:5], v14, s4, v[8:9]
	s_mov_b32 s4, 0xf534ddc0
	v_not_b32_e32 v16, 63
	v_mov_b32_e32 v8, v12
	v_mad_u64_u32 v[12:13], s[4:5], v14, s4, v[8:9]
	s_mov_b32 s4, 0xfc2757d1
	v_cmp_lt_u32_e32 vcc, 63, v15
	v_mov_b32_e32 v8, v13
	v_mad_u64_u32 v[6:7], s[4:5], v14, s4, v[8:9]
	v_cndmask_b32_e32 v8, 0, v16, vcc
	v_add_u32_e32 v13, v8, v15
	v_mov_b32_e32 v8, v7
	s_mov_b32 s4, 0x4e441529
	v_mad_u64_u32 v[7:8], s[4:5], v14, s4, v[8:9]
	v_not_b32_e32 v15, 31
	v_cmp_lt_u32_e64 s[4:5], 31, v13
	s_mov_b32 s6, 0xa2f9836e
	v_cndmask_b32_e64 v16, 0, v15, s[4:5]
	v_mad_u64_u32 v[8:9], s[6:7], v14, s6, v[8:9]
	v_add_u32_e32 v13, v16, v13
	v_cmp_lt_u32_e64 s[6:7], 31, v13
	v_cndmask_b32_e64 v14, 0, v15, s[6:7]
	v_add_u32_e32 v13, v14, v13
	v_cndmask_b32_e32 v14, v7, v12, vcc
	v_cndmask_b32_e32 v8, v8, v6, vcc
	v_cndmask_b32_e32 v7, v9, v7, vcc
	v_cndmask_b32_e32 v6, v6, v11, vcc
	v_cndmask_b32_e64 v15, v8, v14, s[4:5]
	v_cndmask_b32_e64 v7, v7, v8, s[4:5]
	;; [unrolled: 1-line block ×3, first 2 shown]
	v_cndmask_b32_e32 v10, v12, v10, vcc
	v_cndmask_b32_e64 v7, v7, v15, s[6:7]
	v_cndmask_b32_e64 v9, v15, v8, s[6:7]
	v_sub_u32_e32 v14, 32, v13
	v_cndmask_b32_e64 v6, v6, v10, s[4:5]
	v_alignbit_b32 v15, v7, v9, v14
	v_cmp_eq_u32_e64 s[8:9], 0, v13
	v_cndmask_b32_e64 v8, v8, v6, s[6:7]
	v_cndmask_b32_e32 v5, v11, v5, vcc
	v_cndmask_b32_e64 v7, v15, v7, s[8:9]
	v_alignbit_b32 v12, v9, v8, v14
	v_cndmask_b32_e64 v5, v10, v5, s[4:5]
	v_cndmask_b32_e64 v9, v12, v9, s[8:9]
	v_bfe_u32 v15, v7, 29, 1
	v_cndmask_b32_e64 v5, v6, v5, s[6:7]
	v_alignbit_b32 v12, v7, v9, 30
	v_sub_u32_e32 v16, 0, v15
	v_alignbit_b32 v6, v8, v5, v14
	v_xor_b32_e32 v12, v12, v16
	v_cndmask_b32_e64 v6, v6, v8, s[8:9]
	v_alignbit_b32 v8, v9, v6, 30
	v_ffbh_u32_e32 v9, v12
	v_min_u32_e32 v9, 32, v9
	v_alignbit_b32 v5, v6, v5, 30
	v_xor_b32_e32 v8, v8, v16
	v_sub_u32_e32 v10, 31, v9
	v_xor_b32_e32 v5, v5, v16
	v_alignbit_b32 v11, v12, v8, v10
	v_alignbit_b32 v5, v8, v5, v10
	;; [unrolled: 1-line block ×3, first 2 shown]
	v_ffbh_u32_e32 v8, v6
	v_min_u32_e32 v8, 32, v8
	v_lshrrev_b32_e32 v13, 29, v7
	v_not_b32_e32 v10, v8
	v_alignbit_b32 v5, v6, v5, v10
	v_lshlrev_b32_e32 v6, 31, v13
	v_or_b32_e32 v10, 0x33000000, v6
	v_add_lshl_u32 v8, v8, v9, 23
	v_lshrrev_b32_e32 v5, 9, v5
	v_sub_u32_e32 v8, v10, v8
	v_or_b32_e32 v6, 0.5, v6
	v_lshlrev_b32_e32 v9, 23, v9
	v_or_b32_e32 v5, v8, v5
	v_lshrrev_b32_e32 v8, 9, v11
	v_sub_u32_e32 v6, v6, v9
	v_or_b32_e32 v6, v8, v6
	s_mov_b32 s4, 0x3fc90fda
	v_mul_f32_e32 v8, 0x3fc90fda, v6
	v_fma_f32 v9, v6, s4, -v8
	v_fmac_f32_e32 v9, 0x33a22168, v6
	v_fmac_f32_e32 v9, 0x3fc90fda, v5
	v_lshrrev_b32_e32 v5, 30, v7
	v_add_f32_e32 v6, v8, v9
	v_add_u32_e32 v5, v15, v5
	s_andn2_saveexec_b64 s[4:5], s[16:17]
	s_cbranch_execnz .LBB19_135
	s_branch .LBB19_136
.LBB19_134:
	s_andn2_saveexec_b64 s[4:5], s[16:17]
	s_cbranch_execz .LBB19_136
.LBB19_135:
	s_mov_b32 s6, 0x3f22f983
	v_mul_f32_e64 v5, |v0|, s6
	v_rndne_f32_e32 v7, v5
	s_mov_b32 s6, 0xbfc90fda
	v_cvt_i32_f32_e32 v5, v7
	v_fma_f32 v6, v7, s6, |v0|
	v_fmac_f32_e32 v6, 0xb3a22168, v7
	v_fmac_f32_e32 v6, 0xa7c234c4, v7
.LBB19_136:
	s_or_b64 exec, exec, s[4:5]
	s_mov_b32 s6, 0xc0a00000
	v_div_scale_f32 v7, s[4:5], v2, v2, s6
	v_div_scale_f32 v8, vcc, s6, v2, s6
	v_mov_b32_e32 v14, 0x3a15c4d9
	v_mov_b32_e32 v15, 0x3d8cfeeb
	;; [unrolled: 1-line block ×8, first 2 shown]
	v_rcp_f32_e32 v9, v7
	v_fma_f32 v10, -v7, v9, 1.0
	v_fmac_f32_e32 v9, v10, v9
	v_mul_f32_e32 v10, v8, v9
	v_fma_f32 v11, -v7, v10, v8
	v_fmac_f32_e32 v10, v11, v9
	v_fma_f32 v7, -v7, v10, v8
	v_div_fmas_f32 v7, v7, v9, v10
	v_mov_b32_e32 v8, 0x3a47c962
	v_mov_b32_e32 v9, 0x3d95ca45
	;; [unrolled: 1-line block ×4, first 2 shown]
	v_div_fixup_f32 v7, v7, v2, s6
	v_mul_f32_e32 v7, v7, v7
	v_fmac_f32_e32 v8, 0, v7
	v_fmac_f32_e32 v14, 0, v7
	;; [unrolled: 1-line block ×12, first 2 shown]
	v_fma_f32 v8, v7, v19, 1.0
	v_fma_f32 v9, v7, v13, 1.0
	v_div_scale_f32 v10, s[4:5], v8, v8, v9
	v_div_scale_f32 v11, vcc, v9, v8, v9
	v_mov_b32_e32 v12, 0x3d513fd3
	v_mov_b32_e32 v13, 0x409f6dae
	v_fmac_f32_e32 v12, 0, v7
	v_mov_b32_e32 v15, 0x4297a5cd
	v_fmac_f32_e32 v13, v7, v12
	;; [unrolled: 2-line block ×4, first 2 shown]
	s_mov_b32 s6, 0x40a00000
	v_fmac_f32_e32 v17, v7, v16
	v_div_scale_f32 v16, s[4:5], v2, v2, s6
	v_rcp_f32_e32 v14, v10
	v_mov_b32_e32 v12, 0x44840e5d
	v_mov_b32_e32 v13, 0x46156947
	;; [unrolled: 1-line block ×3, first 2 shown]
	v_fma_f32 v18, -v10, v14, 1.0
	v_fmac_f32_e32 v14, v18, v14
	v_mul_f32_e32 v18, v11, v14
	v_fma_f32 v19, -v10, v18, v11
	v_fmac_f32_e32 v18, v19, v14
	v_fma_f32 v10, -v10, v18, v11
	v_div_fmas_f32 v10, v10, v14, v18
	v_mov_b32_e32 v18, 0x42947983
	v_fmac_f32_e32 v18, 0, v7
	v_fmac_f32_e32 v12, v7, v18
	v_mov_b32_e32 v18, 0x459bd349
	v_fmac_f32_e32 v18, v7, v12
	v_mov_b32_e32 v12, 0x45f9e855
	;; [unrolled: 2-line block ×4, first 2 shown]
	v_fmac_f32_e32 v19, v7, v17
	v_fmac_f32_e32 v15, v7, v12
	v_div_scale_f32 v12, vcc, s6, v2, s6
	v_mov_b32_e32 v14, 0x41c9a7fa
	v_mov_b32_e32 v18, 0x43a80bfb
	v_fmac_f32_e32 v11, v7, v19
	v_fmac_f32_e32 v18, v7, v15
	;; [unrolled: 1-line block ×3, first 2 shown]
	v_div_scale_f32 v7, s[4:5], v18, v18, v14
	v_div_scale_f32 v15, s[4:5], v14, v18, v14
	v_mul_f32_e32 v13, v4, v4
	v_div_fixup_f32 v8, v10, v8, v9
	v_mov_b32_e32 v9, 0x3c0881c4
	v_rcp_f32_e32 v11, v16
	v_fmac_f32_e32 v9, 0xb94c1982, v13
	v_mov_b32_e32 v10, 0xbe2aaa9d
	v_fma_f32 v9, v13, v9, v10
	v_mul_f32_e32 v9, v13, v9
	v_fmac_f32_e32 v4, v4, v9
	v_fma_f32 v9, -v16, v11, 1.0
	v_fmac_f32_e32 v11, v9, v11
	v_mul_f32_e32 v9, v12, v11
	v_fma_f32 v19, -v16, v9, v12
	v_fmac_f32_e32 v9, v19, v11
	v_fma_f32 v12, -v16, v9, v12
	v_rcp_f32_e32 v16, v7
	v_div_fmas_f32 v9, v12, v11, v9
	s_mov_b64 vcc, s[4:5]
	v_mov_b32_e32 v17, 0x3c0881c4
	v_fma_f32 v11, -v7, v16, 1.0
	v_fmac_f32_e32 v16, v11, v16
	v_mul_f32_e32 v11, v15, v16
	v_fma_f32 v12, -v7, v11, v15
	v_fmac_f32_e32 v11, v12, v16
	v_fma_f32 v7, -v7, v11, v15
	v_div_fmas_f32 v7, v7, v16, v11
	v_mov_b32_e32 v12, 0xbab64f3b
	v_fmac_f32_e32 v12, 0x37d75334, v13
	v_mov_b32_e32 v15, 0x3d2aabf7
	v_mov_b32_e32 v19, 0xbab64f3b
	v_fma_f32 v11, v13, v12, v15
	v_mov_b32_e32 v12, 0xbf000004
	v_div_fixup_f32 v9, v9, v2, s6
	v_fma_f32 v11, v13, v11, v12
	v_fma_f32 v11, v13, v11, 1.0
	v_and_b32_e32 v13, 1, v3
	v_cmp_eq_u32_e32 vcc, 0, v13
	s_movk_i32 s4, 0x1f8
	v_cndmask_b32_e64 v4, -v4, v11, vcc
	v_lshlrev_b32_e32 v3, 30, v3
	v_cmp_class_f32_e64 vcc, v0, s4
	v_div_fixup_f32 v7, v7, v18, v14
	v_mul_f32_e32 v7, v9, v7
	v_mul_f32_e32 v9, v6, v6
	v_fmac_f32_e32 v17, 0xb94c1982, v9
	v_fmac_f32_e32 v10, v9, v17
	;; [unrolled: 1-line block ×3, first 2 shown]
	v_mul_f32_e32 v10, v9, v10
	v_fmac_f32_e32 v15, v9, v19
	v_fmac_f32_e32 v6, v6, v10
	;; [unrolled: 1-line block ×3, first 2 shown]
	v_and_b32_e32 v10, 1, v5
	v_lshlrev_b32_e32 v5, 30, v5
	v_fma_f32 v9, v9, v12, 1.0
	v_cmp_eq_u32_e64 s[4:5], 0, v10
	v_and_b32_e32 v5, 0x80000000, v5
	v_xor_b32_e32 v0, v1, v0
	v_and_b32_e32 v3, 0x80000000, v3
	v_cndmask_b32_e64 v6, v9, v6, s[4:5]
	v_xor_b32_e32 v0, v0, v5
	v_xor_b32_e32 v3, v3, v4
	v_mov_b32_e32 v4, 0x7fc00000
	v_xor_b32_e32 v0, v0, v6
	s_mov_b32 s4, 0x8f800000
	v_cndmask_b32_e32 v3, v4, v3, vcc
	v_cndmask_b32_e32 v0, v4, v0, vcc
	v_mul_f32_e32 v1, 0xcf800000, v2
	v_cmp_lt_f32_e32 vcc, s4, v2
	v_cndmask_b32_e64 v1, -v2, v1, vcc
	v_sqrt_f32_e32 v2, v1
	v_mul_f32_e32 v0, v7, v0
	v_fmac_f32_e32 v0, v8, v3
	v_mul_f32_e32 v0, 0x3f4c422a, v0
	v_add_u32_e32 v3, -1, v2
	v_fma_f32 v4, -v3, v2, v1
	v_cmp_ge_f32_e64 s[4:5], 0, v4
	v_add_u32_e32 v4, 1, v2
	v_cndmask_b32_e64 v3, v2, v3, s[4:5]
	v_fma_f32 v2, -v4, v2, v1
	v_cmp_lt_f32_e64 s[4:5], 0, v2
	v_cndmask_b32_e64 v2, v3, v4, s[4:5]
	v_mul_f32_e32 v3, 0x37800000, v2
	v_cndmask_b32_e32 v2, v2, v3, vcc
	v_mov_b32_e32 v3, 0x260
	v_cmp_class_f32_e32 vcc, v1, v3
	v_cndmask_b32_e32 v1, v2, v1, vcc
	v_div_scale_f32 v2, s[4:5], v1, v1, v0
	v_div_scale_f32 v3, vcc, v0, v1, v0
	v_rcp_f32_e32 v4, v2
	v_fma_f32 v5, -v2, v4, 1.0
	v_fmac_f32_e32 v4, v5, v4
	v_mul_f32_e32 v5, v3, v4
	v_fma_f32 v6, -v2, v5, v3
	v_fmac_f32_e32 v5, v6, v4
	v_fma_f32 v2, -v2, v5, v3
	v_div_fmas_f32 v2, v2, v4, v5
	v_div_fixup_f32 v0, v2, v1, v0
.LBB19_137:
	s_or_b64 exec, exec, s[14:15]
	v_xor_b32_e32 v0, 0x80000000, v0
.LBB19_138:
	s_or_b64 exec, exec, s[12:13]
	s_or_b64 exec, exec, s[10:11]
	s_setpc_b64 s[30:31]
.LBB19_139:
	s_or_saveexec_b64 s[20:21], s[20:21]
	v_mov_b32_e32 v2, 0x7f800001
	s_xor_b64 exec, exec, s[20:21]
	s_cbranch_execz .LBB19_30
.LBB19_140:
	v_cmp_ne_u16_e32 vcc, 0, v3
	s_andn2_b64 s[18:19], s[18:19], exec
	s_and_b64 s[22:23], vcc, exec
	v_mov_b32_e32 v2, 0
	s_or_b64 s[18:19], s[18:19], s[22:23]
	s_or_b64 exec, exec, s[20:21]
	s_and_saveexec_b64 s[20:21], s[18:19]
	s_cbranch_execnz .LBB19_31
	s_branch .LBB19_32
.LBB19_141:
	s_or_saveexec_b64 s[20:21], s[20:21]
	v_mov_b32_e32 v2, 0x7f800001
	s_xor_b64 exec, exec, s[20:21]
	s_cbranch_execz .LBB19_97
.LBB19_142:
	v_cmp_ne_u16_e32 vcc, 0, v3
	s_andn2_b64 s[18:19], s[18:19], exec
	s_and_b64 s[22:23], vcc, exec
	v_mov_b32_e32 v2, 0
	s_or_b64 s[18:19], s[18:19], s[22:23]
	s_or_b64 exec, exec, s[20:21]
	s_and_saveexec_b64 s[20:21], s[18:19]
	s_cbranch_execnz .LBB19_98
	s_branch .LBB19_99
.Lfunc_end19:
	.size	_ZN2at6native6invokeIZZZNS0_12_GLOBAL__N_121bessel_j1_kernel_cudaERNS_18TensorIteratorBaseEENKUlvE_clEvENKUlvE0_clEvEUlfE_j15function_traitsIS7_EEENT1_11result_typeERKT_PrKPcPKT0_PKN3c1010ScalarTypeEi, .Lfunc_end19-_ZN2at6native6invokeIZZZNS0_12_GLOBAL__N_121bessel_j1_kernel_cudaERNS_18TensorIteratorBaseEENKUlvE_clEvENKUlvE0_clEvEUlfE_j15function_traitsIS7_EEENT1_11result_typeERKT_PrKPcPKT0_PKN3c1010ScalarTypeEi
                                        ; -- End function
	.set .L_ZN2at6native6invokeIZZZNS0_12_GLOBAL__N_121bessel_j1_kernel_cudaERNS_18TensorIteratorBaseEENKUlvE_clEvENKUlvE0_clEvEUlfE_j15function_traitsIS7_EEENT1_11result_typeERKT_PrKPcPKT0_PKN3c1010ScalarTypeEi.num_vgpr, 20
	.set .L_ZN2at6native6invokeIZZZNS0_12_GLOBAL__N_121bessel_j1_kernel_cudaERNS_18TensorIteratorBaseEENKUlvE_clEvENKUlvE0_clEvEUlfE_j15function_traitsIS7_EEENT1_11result_typeERKT_PrKPcPKT0_PKN3c1010ScalarTypeEi.num_agpr, 0
	.set .L_ZN2at6native6invokeIZZZNS0_12_GLOBAL__N_121bessel_j1_kernel_cudaERNS_18TensorIteratorBaseEENKUlvE_clEvENKUlvE0_clEvEUlfE_j15function_traitsIS7_EEENT1_11result_typeERKT_PrKPcPKT0_PKN3c1010ScalarTypeEi.numbered_sgpr, 32
	.set .L_ZN2at6native6invokeIZZZNS0_12_GLOBAL__N_121bessel_j1_kernel_cudaERNS_18TensorIteratorBaseEENKUlvE_clEvENKUlvE0_clEvEUlfE_j15function_traitsIS7_EEENT1_11result_typeERKT_PrKPcPKT0_PKN3c1010ScalarTypeEi.num_named_barrier, 0
	.set .L_ZN2at6native6invokeIZZZNS0_12_GLOBAL__N_121bessel_j1_kernel_cudaERNS_18TensorIteratorBaseEENKUlvE_clEvENKUlvE0_clEvEUlfE_j15function_traitsIS7_EEENT1_11result_typeERKT_PrKPcPKT0_PKN3c1010ScalarTypeEi.private_seg_size, 0
	.set .L_ZN2at6native6invokeIZZZNS0_12_GLOBAL__N_121bessel_j1_kernel_cudaERNS_18TensorIteratorBaseEENKUlvE_clEvENKUlvE0_clEvEUlfE_j15function_traitsIS7_EEENT1_11result_typeERKT_PrKPcPKT0_PKN3c1010ScalarTypeEi.uses_vcc, 1
	.set .L_ZN2at6native6invokeIZZZNS0_12_GLOBAL__N_121bessel_j1_kernel_cudaERNS_18TensorIteratorBaseEENKUlvE_clEvENKUlvE0_clEvEUlfE_j15function_traitsIS7_EEENT1_11result_typeERKT_PrKPcPKT0_PKN3c1010ScalarTypeEi.uses_flat_scratch, 0
	.set .L_ZN2at6native6invokeIZZZNS0_12_GLOBAL__N_121bessel_j1_kernel_cudaERNS_18TensorIteratorBaseEENKUlvE_clEvENKUlvE0_clEvEUlfE_j15function_traitsIS7_EEENT1_11result_typeERKT_PrKPcPKT0_PKN3c1010ScalarTypeEi.has_dyn_sized_stack, 0
	.set .L_ZN2at6native6invokeIZZZNS0_12_GLOBAL__N_121bessel_j1_kernel_cudaERNS_18TensorIteratorBaseEENKUlvE_clEvENKUlvE0_clEvEUlfE_j15function_traitsIS7_EEENT1_11result_typeERKT_PrKPcPKT0_PKN3c1010ScalarTypeEi.has_recursion, 0
	.set .L_ZN2at6native6invokeIZZZNS0_12_GLOBAL__N_121bessel_j1_kernel_cudaERNS_18TensorIteratorBaseEENKUlvE_clEvENKUlvE0_clEvEUlfE_j15function_traitsIS7_EEENT1_11result_typeERKT_PrKPcPKT0_PKN3c1010ScalarTypeEi.has_indirect_call, 0
	.section	.AMDGPU.csdata,"",@progbits
; Function info:
; codeLenInByte = 8012
; TotalNumSgprs: 36
; NumVgprs: 20
; ScratchSize: 0
; MemoryBound: 1
	.section	.text._ZN2at6native32elementwise_kernel_manual_unrollILi128ELi4EZNS0_15gpu_kernel_implIZZZNS0_12_GLOBAL__N_121bessel_j1_kernel_cudaERNS_18TensorIteratorBaseEENKUlvE_clEvENKUlvE0_clEvEUlfE_EEvS5_RKT_EUlibE0_EEviT1_,"axG",@progbits,_ZN2at6native32elementwise_kernel_manual_unrollILi128ELi4EZNS0_15gpu_kernel_implIZZZNS0_12_GLOBAL__N_121bessel_j1_kernel_cudaERNS_18TensorIteratorBaseEENKUlvE_clEvENKUlvE0_clEvEUlfE_EEvS5_RKT_EUlibE0_EEviT1_,comdat
	.globl	_ZN2at6native32elementwise_kernel_manual_unrollILi128ELi4EZNS0_15gpu_kernel_implIZZZNS0_12_GLOBAL__N_121bessel_j1_kernel_cudaERNS_18TensorIteratorBaseEENKUlvE_clEvENKUlvE0_clEvEUlfE_EEvS5_RKT_EUlibE0_EEviT1_ ; -- Begin function _ZN2at6native32elementwise_kernel_manual_unrollILi128ELi4EZNS0_15gpu_kernel_implIZZZNS0_12_GLOBAL__N_121bessel_j1_kernel_cudaERNS_18TensorIteratorBaseEENKUlvE_clEvENKUlvE0_clEvEUlfE_EEvS5_RKT_EUlibE0_EEviT1_
	.p2align	8
	.type	_ZN2at6native32elementwise_kernel_manual_unrollILi128ELi4EZNS0_15gpu_kernel_implIZZZNS0_12_GLOBAL__N_121bessel_j1_kernel_cudaERNS_18TensorIteratorBaseEENKUlvE_clEvENKUlvE0_clEvEUlfE_EEvS5_RKT_EUlibE0_EEviT1_,@function
_ZN2at6native32elementwise_kernel_manual_unrollILi128ELi4EZNS0_15gpu_kernel_implIZZZNS0_12_GLOBAL__N_121bessel_j1_kernel_cudaERNS_18TensorIteratorBaseEENKUlvE_clEvENKUlvE0_clEvEUlfE_EEvS5_RKT_EUlibE0_EEviT1_: ; @_ZN2at6native32elementwise_kernel_manual_unrollILi128ELi4EZNS0_15gpu_kernel_implIZZZNS0_12_GLOBAL__N_121bessel_j1_kernel_cudaERNS_18TensorIteratorBaseEENKUlvE_clEvENKUlvE0_clEvEUlfE_EEvS5_RKT_EUlibE0_EEviT1_
; %bb.0:
	s_load_dword s74, s[4:5], 0x0
	s_load_dword s33, s[4:5], 0x8
	s_add_u32 s0, s0, s7
	s_addc_u32 s1, s1, 0
	s_mov_b64 s[28:29], s[4:5]
	s_add_u32 s34, s28, 8
	s_addc_u32 s35, s29, 0
	v_lshl_or_b32 v23, s6, 9, v0
	s_waitcnt lgkmcnt(0)
	s_add_i32 s76, s33, -1
	v_or_b32_e32 v1, 0x180, v23
	s_cmp_gt_u32 s76, 1
	v_cmp_le_i32_e32 vcc, s74, v1
	s_cselect_b64 s[50:51], -1, 0
	s_mov_b64 s[48:49], 0
	s_mov_b64 s[40:41], 0
	s_mov_b32 s32, 0
	s_and_saveexec_b64 s[4:5], vcc
	s_xor_b64 s[52:53], exec, s[4:5]
	s_cbranch_execz .LBB20_566
; %bb.1:
	v_mov_b32_e32 v0, 0
	global_load_ushort v0, v0, s[34:35] offset:345
	s_load_dwordx4 s[44:47], s[34:35], 0x4
	s_load_dwordx2 s[54:55], s[34:35], 0x14
	s_load_dwordx4 s[40:43], s[34:35], 0xc4
	s_load_dwordx4 s[36:39], s[34:35], 0x148
	s_cmp_lg_u32 s33, 0
	s_cselect_b64 s[60:61], -1, 0
	s_add_u32 s58, s34, 0xc4
	s_addc_u32 s59, s35, 0
	s_min_u32 s78, s76, 15
	v_mov_b32_e32 v1, 8
	s_cmp_gt_u32 s33, 1
	v_cmp_gt_i32_e32 vcc, s74, v23
	s_mov_b64 s[4:5], -1
	s_mov_b64 s[68:69], 0
	s_cselect_b64 s[56:57], -1, 0
	s_mov_b64 s[62:63], 0
	s_waitcnt vmcnt(0)
	v_readfirstlane_b32 s77, v0
	v_lshrrev_b32_sdwa v20, v1, v0 dst_sel:DWORD dst_unused:UNUSED_PAD src0_sel:DWORD src1_sel:WORD_0
	s_and_saveexec_b64 s[64:65], vcc
	s_cbranch_execz .LBB20_138
; %bb.2:
	s_andn2_b64 vcc, exec, s[50:51]
	s_cbranch_vccnz .LBB20_7
; %bb.3:
	s_andn2_b64 vcc, exec, s[60:61]
	s_cbranch_vccnz .LBB20_8
; %bb.4:
	s_add_i32 s31, s78, 1
	s_cmp_eq_u32 s76, 2
	s_cbranch_scc1 .LBB20_9
; %bb.5:
	s_and_b32 s30, s31, 28
	v_mov_b32_e32 v2, 0
	s_mov_b32 s62, 0
	s_mov_b64 s[24:25], s[34:35]
	s_mov_b64 s[26:27], s[58:59]
	v_mov_b32_e32 v21, 0
	v_mov_b32_e32 v0, v23
.LBB20_6:                               ; =>This Inner Loop Header: Depth=1
	s_load_dwordx8 s[12:19], s[24:25], 0x4
	s_load_dwordx4 s[20:23], s[24:25], 0x24
	s_load_dwordx8 s[4:11], s[26:27], 0x0
	s_add_u32 s24, s24, 48
	s_addc_u32 s25, s25, 0
	s_waitcnt lgkmcnt(0)
	v_mul_hi_u32 v1, s13, v0
	s_add_i32 s62, s62, 4
	s_add_u32 s26, s26, 32
	s_addc_u32 s27, s27, 0
	v_add_u32_e32 v1, v0, v1
	v_lshrrev_b32_e32 v1, s14, v1
	v_mul_lo_u32 v3, v1, s12
	v_mul_hi_u32 v4, s16, v1
	s_cmp_lg_u32 s30, s62
	v_sub_u32_e32 v0, v0, v3
	v_add_u32_e32 v3, v1, v4
	v_mul_lo_u32 v4, v0, s4
	v_mul_lo_u32 v5, v0, s5
	v_lshrrev_b32_e32 v0, s17, v3
	v_mul_lo_u32 v3, v0, s15
	v_mul_hi_u32 v6, s19, v0
	v_sub_u32_e32 v1, v1, v3
	v_add_u32_e32 v3, v0, v6
	v_lshrrev_b32_e32 v3, s20, v3
	v_mul_hi_u32 v7, s22, v3
	v_mul_lo_u32 v8, v3, s18
	v_mul_lo_u32 v6, v1, s6
	;; [unrolled: 1-line block ×3, first 2 shown]
	v_sub_u32_e32 v8, v0, v8
	v_add_u32_e32 v0, v3, v7
	v_lshrrev_b32_e32 v0, s23, v0
	v_mul_lo_u32 v7, v0, s21
	v_mul_lo_u32 v9, v8, s8
	;; [unrolled: 1-line block ×3, first 2 shown]
	v_add3_u32 v4, v4, v21, v6
	v_sub_u32_e32 v3, v3, v7
	v_mul_lo_u32 v7, v3, s10
	v_mul_lo_u32 v3, v3, s11
	v_add3_u32 v1, v5, v2, v1
	v_add3_u32 v21, v9, v4, v7
	;; [unrolled: 1-line block ×3, first 2 shown]
	s_cbranch_scc1 .LBB20_6
	s_branch .LBB20_10
.LBB20_7:
                                        ; implicit-def: $vgpr21
                                        ; implicit-def: $vgpr2
	s_andn2_b64 vcc, exec, s[4:5]
	s_cbranch_vccz .LBB20_14
	s_branch .LBB20_16
.LBB20_8:
	v_mov_b32_e32 v21, 0
	v_mov_b32_e32 v2, 0
	s_branch .LBB20_13
.LBB20_9:
	s_mov_b32 s30, 0
	v_mov_b32_e32 v21, 0
	v_mov_b32_e32 v2, 0
	;; [unrolled: 1-line block ×3, first 2 shown]
.LBB20_10:
	s_and_b32 s8, s31, 3
	s_cmp_eq_u32 s8, 0
	s_cbranch_scc1 .LBB20_13
; %bb.11:
	s_lshl_b32 s4, s30, 3
	s_add_u32 s4, s34, s4
	s_addc_u32 s5, s35, 0
	s_add_u32 s4, s4, 0xc4
	s_addc_u32 s5, s5, 0
	s_mul_i32 s6, s30, 12
	s_add_u32 s6, s34, s6
	s_addc_u32 s7, s35, 0
.LBB20_12:                              ; =>This Inner Loop Header: Depth=1
	s_load_dwordx2 s[10:11], s[6:7], 0x4
	s_load_dword s9, s[6:7], 0xc
	s_load_dwordx2 s[12:13], s[4:5], 0x0
	s_add_u32 s6, s6, 12
	s_addc_u32 s7, s7, 0
	s_waitcnt lgkmcnt(0)
	v_mul_hi_u32 v1, s11, v0
	s_add_u32 s4, s4, 8
	s_addc_u32 s5, s5, 0
	s_add_i32 s8, s8, -1
	v_add_u32_e32 v1, v0, v1
	v_lshrrev_b32_e32 v1, s9, v1
	v_mul_lo_u32 v3, v1, s10
	s_cmp_lg_u32 s8, 0
	v_sub_u32_e32 v0, v0, v3
	v_mad_u64_u32 v[21:22], s[10:11], v0, s12, v[21:22]
	v_mad_u64_u32 v[2:3], s[10:11], v0, s13, v[2:3]
	v_mov_b32_e32 v0, v1
	s_cbranch_scc1 .LBB20_12
.LBB20_13:
	s_cbranch_execnz .LBB20_16
.LBB20_14:
	s_waitcnt lgkmcnt(0)
	v_mul_hi_u32 v0, s45, v23
	s_andn2_b64 vcc, exec, s[56:57]
	v_add_u32_e32 v0, v23, v0
	v_lshrrev_b32_e32 v0, s46, v0
	v_mul_lo_u32 v1, v0, s44
	v_sub_u32_e32 v1, v23, v1
	v_mul_lo_u32 v21, v1, s40
	v_mul_lo_u32 v2, v1, s41
	s_cbranch_vccnz .LBB20_16
; %bb.15:
	v_mul_hi_u32 v1, s54, v0
	v_add_u32_e32 v1, v0, v1
	v_lshrrev_b32_e32 v1, s55, v1
	v_mul_lo_u32 v1, v1, s47
	v_sub_u32_e32 v0, v0, v1
	v_mad_u64_u32 v[21:22], s[4:5], v0, s42, v[21:22]
	v_mad_u64_u32 v[2:3], s[4:5], v0, s43, v[2:3]
.LBB20_16:
	s_getpc_b64 s[4:5]
	s_add_u32 s4, s4, _ZN2at6native6invokeIZZZNS0_12_GLOBAL__N_121bessel_j1_kernel_cudaERNS_18TensorIteratorBaseEENKUlvE_clEvENKUlvE0_clEvEUlfE_j15function_traitsIS7_EEENT1_11result_typeERKT_PrKPcPKT0_PKN3c1010ScalarTypeEi@rel32@lo+4
	s_addc_u32 s5, s5, _ZN2at6native6invokeIZZZNS0_12_GLOBAL__N_121bessel_j1_kernel_cudaERNS_18TensorIteratorBaseEENKUlvE_clEvENKUlvE0_clEvEUlfE_j15function_traitsIS7_EEENT1_11result_typeERKT_PrKPcPKT0_PKN3c1010ScalarTypeEi@rel32@hi+12
	s_waitcnt lgkmcnt(0)
	v_mov_b32_e32 v0, s38
	v_mov_b32_e32 v1, s39
	;; [unrolled: 1-line block ×3, first 2 shown]
	s_swappc_b64 s[30:31], s[4:5]
	v_mov_b32_e32 v1, s37
	s_and_b32 s12, s77, 0xff
	v_add_co_u32_e32 v2, vcc, s36, v21
	s_cmp_lt_i32 s12, 11
	v_addc_co_u32_e32 v3, vcc, 0, v1, vcc
	s_cbranch_scc1 .LBB20_23
; %bb.17:
	s_and_b32 s13, 0xffff, s12
	s_cmp_gt_i32 s13, 25
	s_cbranch_scc0 .LBB20_26
; %bb.18:
	s_cmp_gt_i32 s13, 28
	s_cbranch_scc0 .LBB20_27
; %bb.19:
	;; [unrolled: 3-line block ×4, first 2 shown]
	s_mov_b64 s[8:9], 0
	s_mov_b64 s[4:5], -1
	s_cmp_eq_u32 s13, 46
	s_mov_b64 s[6:7], 0
	s_cbranch_scc0 .LBB20_30
; %bb.22:
	v_bfe_u32 v1, v0, 16, 1
	s_movk_i32 s4, 0x7fff
	v_add3_u32 v1, v0, v1, s4
	v_cmp_o_f32_e32 vcc, v0, v0
	v_mov_b32_e32 v4, 0x7fc0
	v_cndmask_b32_sdwa v1, v4, v1, vcc dst_sel:DWORD dst_unused:UNUSED_PAD src0_sel:DWORD src1_sel:WORD_1
	global_store_dword v[2:3], v1, off
	s_mov_b64 s[6:7], -1
	s_mov_b64 s[4:5], 0
	s_branch .LBB20_30
.LBB20_23:
	s_mov_b64 s[4:5], 0
	s_mov_b64 s[6:7], 0
	s_cbranch_execnz .LBB20_98
.LBB20_24:
	s_andn2_b64 vcc, exec, s[6:7]
	s_cbranch_vccnz .LBB20_136
.LBB20_25:
	v_add_u32_e32 v23, 0x80, v23
	s_mov_b64 s[6:7], -1
	s_branch .LBB20_137
.LBB20_26:
	s_mov_b64 s[4:5], 0
	s_mov_b64 s[6:7], 0
	s_cbranch_execnz .LBB20_57
	s_branch .LBB20_97
.LBB20_27:
	s_mov_b64 s[8:9], -1
	s_mov_b64 s[4:5], 0
	s_mov_b64 s[6:7], 0
	s_branch .LBB20_40
.LBB20_28:
	s_mov_b64 s[8:9], -1
	s_mov_b64 s[4:5], 0
	s_mov_b64 s[6:7], 0
	s_branch .LBB20_36
.LBB20_29:
	s_mov_b64 s[8:9], -1
	s_mov_b64 s[4:5], 0
	s_mov_b64 s[6:7], 0
.LBB20_30:
	s_and_b64 vcc, exec, s[8:9]
	s_cbranch_vccz .LBB20_35
; %bb.31:
	s_cmp_eq_u32 s13, 44
	s_mov_b64 s[4:5], -1
	s_cbranch_scc0 .LBB20_35
; %bb.32:
	v_bfe_u32 v1, v0, 23, 8
	s_movk_i32 s4, 0xff
	v_cmp_ne_u32_e32 vcc, s4, v1
	v_mov_b32_e32 v4, 0xff
	s_and_saveexec_b64 s[6:7], vcc
; %bb.33:
	s_mov_b32 s4, 0x3fffff
	v_and_b32_e32 v5, 0x400000, v0
	v_and_or_b32 v1, v0, s4, v1
	v_cmp_ne_u32_e32 vcc, 0, v5
	v_cmp_ne_u32_e64 s[4:5], 0, v1
	s_and_b64 s[4:5], vcc, s[4:5]
	v_lshrrev_b32_e32 v4, 23, v0
	v_cndmask_b32_e64 v1, 0, 1, s[4:5]
	v_add_u32_e32 v4, v4, v1
; %bb.34:
	s_or_b64 exec, exec, s[6:7]
	s_mov_b64 s[6:7], -1
	s_mov_b64 s[4:5], 0
	global_store_byte v[2:3], v4, off
.LBB20_35:
	s_mov_b64 s[8:9], 0
.LBB20_36:
	s_and_b64 vcc, exec, s[8:9]
	s_cbranch_vccz .LBB20_39
; %bb.37:
	s_cmp_eq_u32 s13, 29
	s_mov_b64 s[4:5], -1
	s_cbranch_scc0 .LBB20_39
; %bb.38:
	v_trunc_f32_e32 v1, v0
	v_mul_f32_e32 v4, 0x2f800000, v1
	v_floor_f32_e32 v4, v4
	v_fmac_f32_e32 v1, 0xcf800000, v4
	v_cvt_u32_f32_e32 v5, v4
	v_cvt_u32_f32_e32 v4, v1
	s_mov_b64 s[6:7], -1
	s_mov_b64 s[4:5], 0
	s_mov_b64 s[8:9], 0
	global_store_dwordx2 v[2:3], v[4:5], off
	s_branch .LBB20_40
.LBB20_39:
	s_mov_b64 s[8:9], 0
.LBB20_40:
	s_and_b64 vcc, exec, s[8:9]
	s_cbranch_vccz .LBB20_56
; %bb.41:
	s_cmp_lt_i32 s13, 27
	s_mov_b64 s[6:7], -1
	s_cbranch_scc1 .LBB20_47
; %bb.42:
	s_cmp_gt_i32 s13, 27
	s_cbranch_scc0 .LBB20_44
; %bb.43:
	v_cvt_u32_f32_e32 v1, v0
	s_mov_b64 s[6:7], 0
	global_store_dword v[2:3], v1, off
.LBB20_44:
	s_andn2_b64 vcc, exec, s[6:7]
	s_cbranch_vccnz .LBB20_46
; %bb.45:
	v_cvt_u32_f32_e32 v1, v0
	global_store_short v[2:3], v1, off
.LBB20_46:
	s_mov_b64 s[6:7], 0
.LBB20_47:
	s_andn2_b64 vcc, exec, s[6:7]
	s_cbranch_vccnz .LBB20_55
; %bb.48:
	v_and_b32_e32 v1, 0x7fffffff, v0
	s_mov_b32 s6, 0x43800000
	v_cmp_gt_u32_e32 vcc, s6, v1
	v_mov_b32_e32 v4, 0x80
	s_and_saveexec_b64 s[6:7], vcc
	s_cbranch_execz .LBB20_54
; %bb.49:
	s_mov_b32 s8, 0x3bffffff
	v_cmp_lt_u32_e32 vcc, s8, v1
	s_mov_b64 s[8:9], 0
                                        ; implicit-def: $vgpr1
	s_and_saveexec_b64 s[10:11], vcc
	s_xor_b64 s[10:11], exec, s[10:11]
	s_cbranch_execz .LBB20_169
; %bb.50:
	v_bfe_u32 v1, v0, 20, 1
	s_mov_b32 s14, 0x487ffff
	v_add3_u32 v1, v0, v1, s14
	s_mov_b64 s[8:9], exec
	v_lshrrev_b32_e32 v1, 20, v1
	s_andn2_saveexec_b64 s[10:11], s[10:11]
	s_cbranch_execnz .LBB20_170
.LBB20_51:
	s_or_b64 exec, exec, s[10:11]
	v_mov_b32_e32 v4, 0
	s_and_saveexec_b64 s[10:11], s[8:9]
.LBB20_52:
	v_lshrrev_b32_e32 v4, 24, v0
	s_movk_i32 s8, 0x80
	v_and_or_b32 v4, v4, s8, v1
.LBB20_53:
	s_or_b64 exec, exec, s[10:11]
.LBB20_54:
	s_or_b64 exec, exec, s[6:7]
	global_store_byte v[2:3], v4, off
.LBB20_55:
	s_mov_b64 s[6:7], -1
.LBB20_56:
	s_branch .LBB20_97
.LBB20_57:
	s_cmp_gt_i32 s13, 22
	s_mov_b64 s[8:9], -1
	s_cbranch_scc0 .LBB20_89
; %bb.58:
	s_cmp_lt_i32 s13, 24
	s_mov_b64 s[6:7], -1
	s_cbranch_scc1 .LBB20_78
; %bb.59:
	s_cmp_gt_i32 s13, 24
	s_cbranch_scc0 .LBB20_67
; %bb.60:
	v_and_b32_e32 v1, 0x7fffffff, v0
	s_mov_b32 s6, 0x47800000
	v_cmp_gt_u32_e32 vcc, s6, v1
	v_mov_b32_e32 v4, 0x80
	s_and_saveexec_b64 s[6:7], vcc
	s_cbranch_execz .LBB20_66
; %bb.61:
	s_mov_b32 s8, 0x37ffffff
	v_cmp_lt_u32_e32 vcc, s8, v1
	s_mov_b64 s[8:9], 0
                                        ; implicit-def: $vgpr1
	s_and_saveexec_b64 s[10:11], vcc
	s_xor_b64 s[10:11], exec, s[10:11]
	s_cbranch_execz .LBB20_172
; %bb.62:
	v_bfe_u32 v1, v0, 21, 1
	s_mov_b32 s14, 0x88fffff
	v_add3_u32 v1, v0, v1, s14
	s_mov_b64 s[8:9], exec
	v_lshrrev_b32_e32 v1, 21, v1
	s_andn2_saveexec_b64 s[10:11], s[10:11]
	s_cbranch_execnz .LBB20_173
.LBB20_63:
	s_or_b64 exec, exec, s[10:11]
	v_mov_b32_e32 v4, 0
	s_and_saveexec_b64 s[10:11], s[8:9]
.LBB20_64:
	v_lshrrev_b32_e32 v4, 24, v0
	s_movk_i32 s8, 0x80
	v_and_or_b32 v4, v4, s8, v1
.LBB20_65:
	s_or_b64 exec, exec, s[10:11]
.LBB20_66:
	s_or_b64 exec, exec, s[6:7]
	s_mov_b64 s[6:7], 0
	global_store_byte v[2:3], v4, off
.LBB20_67:
	s_and_b64 vcc, exec, s[6:7]
	s_cbranch_vccz .LBB20_77
; %bb.68:
	v_and_b32_e32 v4, 0x7fffffff, v0
	s_mov_b32 s6, 0x43f00000
	v_cmp_gt_u32_e32 vcc, s6, v4
                                        ; implicit-def: $vgpr1
	s_and_saveexec_b64 s[6:7], vcc
	s_xor_b64 s[6:7], exec, s[6:7]
	s_cbranch_execz .LBB20_74
; %bb.69:
	s_mov_b32 s8, 0x3c7fffff
	v_cmp_lt_u32_e32 vcc, s8, v4
                                        ; implicit-def: $vgpr1
	s_and_saveexec_b64 s[8:9], vcc
	s_xor_b64 s[8:9], exec, s[8:9]
; %bb.70:
	v_bfe_u32 v1, v0, 20, 1
	s_mov_b32 s10, 0x407ffff
	v_add3_u32 v1, v0, v1, s10
	v_lshrrev_b32_e32 v4, 20, v1
	v_and_b32_e32 v1, 0xff00000, v1
	s_mov_b32 s10, 0x7f00000
	v_mov_b32_e32 v5, 0x7e
	v_cmp_ne_u32_e32 vcc, s10, v1
	v_cndmask_b32_e32 v1, v5, v4, vcc
; %bb.71:
	s_andn2_saveexec_b64 s[8:9], s[8:9]
; %bb.72:
	s_mov_b32 s10, 0x46800000
	v_add_f32_e64 v1, |v0|, s10
; %bb.73:
	s_or_b64 exec, exec, s[8:9]
                                        ; implicit-def: $vgpr4
.LBB20_74:
	s_andn2_saveexec_b64 s[6:7], s[6:7]
; %bb.75:
	s_mov_b32 s8, 0x7f800000
	v_mov_b32_e32 v1, 0x7e
	v_mov_b32_e32 v5, 0x7f
	v_cmp_lt_u32_e32 vcc, s8, v4
	v_cndmask_b32_e32 v1, v1, v5, vcc
; %bb.76:
	s_or_b64 exec, exec, s[6:7]
	v_lshrrev_b32_e32 v4, 24, v0
	s_movk_i32 s6, 0x80
	v_and_or_b32 v1, v4, s6, v1
	global_store_byte v[2:3], v1, off
.LBB20_77:
	s_mov_b64 s[6:7], 0
.LBB20_78:
	s_andn2_b64 vcc, exec, s[6:7]
	s_cbranch_vccnz .LBB20_88
; %bb.79:
	v_and_b32_e32 v4, 0x7fffffff, v0
	s_mov_b32 s6, 0x47800000
	v_cmp_gt_u32_e32 vcc, s6, v4
                                        ; implicit-def: $vgpr1
	s_and_saveexec_b64 s[6:7], vcc
	s_xor_b64 s[6:7], exec, s[6:7]
	s_cbranch_execz .LBB20_85
; %bb.80:
	s_mov_b32 s8, 0x387fffff
	v_cmp_lt_u32_e32 vcc, s8, v4
                                        ; implicit-def: $vgpr1
	s_and_saveexec_b64 s[8:9], vcc
	s_xor_b64 s[8:9], exec, s[8:9]
; %bb.81:
	v_bfe_u32 v1, v0, 21, 1
	s_mov_b32 s10, 0x80fffff
	v_add3_u32 v1, v0, v1, s10
	v_lshrrev_b32_e32 v1, 21, v1
; %bb.82:
	s_andn2_saveexec_b64 s[8:9], s[8:9]
; %bb.83:
	s_mov_b32 s10, 0x43000000
	v_add_f32_e64 v1, |v0|, s10
; %bb.84:
	s_or_b64 exec, exec, s[8:9]
                                        ; implicit-def: $vgpr4
.LBB20_85:
	s_andn2_saveexec_b64 s[6:7], s[6:7]
; %bb.86:
	s_mov_b32 s8, 0x7f800000
	v_mov_b32_e32 v1, 0x7c
	v_mov_b32_e32 v5, 0x7f
	v_cmp_lt_u32_e32 vcc, s8, v4
	v_cndmask_b32_e32 v1, v1, v5, vcc
; %bb.87:
	s_or_b64 exec, exec, s[6:7]
	v_lshrrev_b32_e32 v4, 24, v0
	s_movk_i32 s6, 0x80
	v_and_or_b32 v1, v4, s6, v1
	global_store_byte v[2:3], v1, off
.LBB20_88:
	s_mov_b64 s[8:9], 0
	s_mov_b64 s[6:7], -1
.LBB20_89:
	s_andn2_b64 vcc, exec, s[8:9]
	s_cbranch_vccnz .LBB20_97
; %bb.90:
	s_cmp_gt_i32 s13, 14
	s_mov_b64 s[8:9], -1
	s_cbranch_scc0 .LBB20_94
; %bb.91:
	s_cmp_eq_u32 s13, 15
	s_mov_b64 s[4:5], -1
	s_cbranch_scc0 .LBB20_93
; %bb.92:
	v_bfe_u32 v1, v0, 16, 1
	s_movk_i32 s4, 0x7fff
	v_add3_u32 v1, v0, v1, s4
	v_cmp_o_f32_e32 vcc, v0, v0
	v_mov_b32_e32 v4, 0x7fc0
	v_cndmask_b32_sdwa v1, v4, v1, vcc dst_sel:DWORD dst_unused:UNUSED_PAD src0_sel:DWORD src1_sel:WORD_1
	global_store_short v[2:3], v1, off
	s_mov_b64 s[6:7], -1
	s_mov_b64 s[4:5], 0
.LBB20_93:
	s_mov_b64 s[8:9], 0
.LBB20_94:
	s_and_b64 vcc, exec, s[8:9]
	s_cbranch_vccz .LBB20_97
; %bb.95:
	s_cmp_eq_u32 s13, 11
	s_mov_b64 s[4:5], -1
	s_cbranch_scc0 .LBB20_97
; %bb.96:
	v_cmp_neq_f32_e32 vcc, 0, v0
	v_cndmask_b32_e64 v1, 0, 1, vcc
	s_mov_b64 s[6:7], -1
	s_mov_b64 s[4:5], 0
	global_store_byte v[2:3], v1, off
.LBB20_97:
	s_branch .LBB20_24
.LBB20_98:
	s_and_b32 s8, 0xffff, s12
	s_cmp_lt_i32 s8, 5
	s_mov_b64 s[6:7], -1
	s_cbranch_scc1 .LBB20_119
; %bb.99:
	s_cmp_lt_i32 s8, 8
	s_cbranch_scc1 .LBB20_109
; %bb.100:
	s_cmp_lt_i32 s8, 9
	s_cbranch_scc1 .LBB20_106
; %bb.101:
	s_cmp_gt_i32 s8, 9
	s_cbranch_scc0 .LBB20_103
; %bb.102:
	v_cvt_f64_f32_e32 v[4:5], v0
	v_mov_b32_e32 v6, 0
	v_mov_b32_e32 v7, v6
	s_mov_b64 s[6:7], 0
	global_store_dwordx4 v[2:3], v[4:7], off
.LBB20_103:
	s_andn2_b64 vcc, exec, s[6:7]
	s_cbranch_vccnz .LBB20_105
; %bb.104:
	v_mov_b32_e32 v1, 0
	global_store_dwordx2 v[2:3], v[0:1], off
.LBB20_105:
	s_mov_b64 s[6:7], 0
.LBB20_106:
	s_andn2_b64 vcc, exec, s[6:7]
	s_cbranch_vccnz .LBB20_108
; %bb.107:
	v_cvt_f16_f32_e32 v1, v0
	global_store_dword v[2:3], v1, off
.LBB20_108:
	s_mov_b64 s[6:7], 0
.LBB20_109:
	s_andn2_b64 vcc, exec, s[6:7]
	s_cbranch_vccnz .LBB20_118
; %bb.110:
	s_cmp_lt_i32 s8, 6
	s_mov_b64 s[6:7], -1
	s_cbranch_scc1 .LBB20_116
; %bb.111:
	s_cmp_gt_i32 s8, 6
	s_cbranch_scc0 .LBB20_113
; %bb.112:
	v_cvt_f64_f32_e32 v[4:5], v0
	s_mov_b64 s[6:7], 0
	global_store_dwordx2 v[2:3], v[4:5], off
.LBB20_113:
	s_andn2_b64 vcc, exec, s[6:7]
	s_cbranch_vccnz .LBB20_115
; %bb.114:
	global_store_dword v[2:3], v0, off
.LBB20_115:
	s_mov_b64 s[6:7], 0
.LBB20_116:
	s_andn2_b64 vcc, exec, s[6:7]
	s_cbranch_vccnz .LBB20_118
; %bb.117:
	v_cvt_f16_f32_e32 v1, v0
	global_store_short v[2:3], v1, off
.LBB20_118:
	s_mov_b64 s[6:7], 0
.LBB20_119:
	s_andn2_b64 vcc, exec, s[6:7]
	s_cbranch_vccnz .LBB20_135
; %bb.120:
	s_cmp_lt_i32 s8, 2
	s_mov_b64 s[6:7], -1
	s_cbranch_scc1 .LBB20_130
; %bb.121:
	s_cmp_lt_i32 s8, 3
	s_cbranch_scc1 .LBB20_127
; %bb.122:
	s_cmp_gt_i32 s8, 3
	s_cbranch_scc0 .LBB20_124
; %bb.123:
	v_trunc_f32_e32 v1, v0
	s_mov_b32 s6, 0x2f800000
	v_mul_f32_e64 v4, |v1|, s6
	v_floor_f32_e32 v4, v4
	s_mov_b32 s6, 0xcf800000
	v_cvt_u32_f32_e32 v5, v4
	v_fma_f32 v4, v4, s6, |v1|
	v_cvt_u32_f32_e32 v4, v4
	v_ashrrev_i32_e32 v1, 31, v1
	v_xor_b32_e32 v5, v5, v1
	s_mov_b64 s[6:7], 0
	v_xor_b32_e32 v4, v4, v1
	v_sub_co_u32_e32 v4, vcc, v4, v1
	v_subb_co_u32_e32 v5, vcc, v5, v1, vcc
	global_store_dwordx2 v[2:3], v[4:5], off
.LBB20_124:
	s_andn2_b64 vcc, exec, s[6:7]
	s_cbranch_vccnz .LBB20_126
; %bb.125:
	v_cvt_i32_f32_e32 v1, v0
	global_store_dword v[2:3], v1, off
.LBB20_126:
	s_mov_b64 s[6:7], 0
.LBB20_127:
	s_andn2_b64 vcc, exec, s[6:7]
	s_cbranch_vccnz .LBB20_129
; %bb.128:
	v_cvt_i32_f32_e32 v1, v0
	global_store_short v[2:3], v1, off
.LBB20_129:
	s_mov_b64 s[6:7], 0
.LBB20_130:
	s_andn2_b64 vcc, exec, s[6:7]
	s_cbranch_vccnz .LBB20_135
; %bb.131:
	s_cmp_gt_i32 s8, 0
	s_mov_b64 s[6:7], -1
	s_cbranch_scc0 .LBB20_133
; %bb.132:
	v_cvt_i32_f32_e32 v1, v0
	s_mov_b64 s[6:7], 0
	global_store_byte v[2:3], v1, off
.LBB20_133:
	s_andn2_b64 vcc, exec, s[6:7]
	s_cbranch_vccnz .LBB20_135
; %bb.134:
	v_trunc_f32_e32 v0, v0
	s_mov_b32 s6, 0x2f800000
	v_mul_f32_e64 v1, |v0|, s6
	v_floor_f32_e32 v1, v1
	s_mov_b32 s6, 0xcf800000
	v_fma_f32 v1, v1, s6, |v0|
	v_cvt_u32_f32_e32 v1, v1
	v_ashrrev_i32_e32 v0, 31, v0
	v_xor_b32_e32 v1, v1, v0
	v_sub_u32_e32 v0, v1, v0
	global_store_byte v[2:3], v0, off
.LBB20_135:
	s_branch .LBB20_25
.LBB20_136:
	s_mov_b64 s[6:7], 0
                                        ; implicit-def: $vgpr23
.LBB20_137:
	s_and_b64 s[62:63], s[4:5], exec
	s_orn2_b64 s[4:5], s[6:7], exec
.LBB20_138:
	s_or_b64 exec, exec, s[64:65]
	s_mov_b64 s[6:7], 0
                                        ; implicit-def: $sgpr14
                                        ; implicit-def: $vgpr2_vgpr3
                                        ; implicit-def: $vgpr0
	s_and_saveexec_b64 s[64:65], s[4:5]
	s_cbranch_execz .LBB20_145
; %bb.139:
	v_cmp_gt_i32_e32 vcc, s74, v23
	s_mov_b64 s[8:9], -1
	s_mov_b64 s[66:67], s[62:63]
	s_and_saveexec_b64 s[68:69], vcc
	s_cbranch_execz .LBB20_284
; %bb.140:
	s_andn2_b64 vcc, exec, s[50:51]
	s_cbranch_vccnz .LBB20_148
; %bb.141:
	s_andn2_b64 vcc, exec, s[60:61]
	s_cbranch_vccnz .LBB20_149
; %bb.142:
	s_add_i32 s31, s78, 1
	s_cmp_eq_u32 s76, 2
	s_cbranch_scc1 .LBB20_150
; %bb.143:
	s_and_b32 s30, s31, 28
	v_mov_b32_e32 v2, 0
	s_mov_b32 s66, 0
	s_mov_b64 s[24:25], s[34:35]
	s_mov_b64 s[26:27], s[58:59]
	v_mov_b32_e32 v21, 0
	v_mov_b32_e32 v0, v23
.LBB20_144:                             ; =>This Inner Loop Header: Depth=1
	s_load_dwordx8 s[12:19], s[24:25], 0x4
	s_load_dwordx4 s[20:23], s[24:25], 0x24
	s_load_dwordx8 s[4:11], s[26:27], 0x0
	s_add_u32 s24, s24, 48
	s_addc_u32 s25, s25, 0
	s_waitcnt lgkmcnt(0)
	v_mul_hi_u32 v1, s13, v0
	s_add_i32 s66, s66, 4
	s_add_u32 s26, s26, 32
	s_addc_u32 s27, s27, 0
	v_add_u32_e32 v1, v0, v1
	v_lshrrev_b32_e32 v1, s14, v1
	v_mul_lo_u32 v3, v1, s12
	v_mul_hi_u32 v4, s16, v1
	s_cmp_eq_u32 s30, s66
	v_sub_u32_e32 v0, v0, v3
	v_add_u32_e32 v3, v1, v4
	v_mul_lo_u32 v4, v0, s4
	v_mul_lo_u32 v5, v0, s5
	v_lshrrev_b32_e32 v0, s17, v3
	v_mul_lo_u32 v3, v0, s15
	v_mul_hi_u32 v6, s19, v0
	v_sub_u32_e32 v1, v1, v3
	v_add_u32_e32 v3, v0, v6
	v_lshrrev_b32_e32 v3, s20, v3
	v_mul_hi_u32 v7, s22, v3
	v_mul_lo_u32 v8, v3, s18
	v_mul_lo_u32 v6, v1, s6
	;; [unrolled: 1-line block ×3, first 2 shown]
	v_sub_u32_e32 v8, v0, v8
	v_add_u32_e32 v0, v3, v7
	v_lshrrev_b32_e32 v0, s23, v0
	v_mul_lo_u32 v7, v0, s21
	v_mul_lo_u32 v9, v8, s8
	;; [unrolled: 1-line block ×3, first 2 shown]
	v_add3_u32 v4, v4, v21, v6
	v_sub_u32_e32 v3, v3, v7
	v_mul_lo_u32 v7, v3, s10
	v_mul_lo_u32 v3, v3, s11
	v_add3_u32 v1, v5, v2, v1
	v_add3_u32 v21, v9, v4, v7
	;; [unrolled: 1-line block ×3, first 2 shown]
	s_cbranch_scc0 .LBB20_144
	s_branch .LBB20_151
.LBB20_145:
	s_or_b64 exec, exec, s[64:65]
	s_mov_b64 s[4:5], 0
	s_and_saveexec_b64 s[8:9], s[62:63]
	s_cbranch_execnz .LBB20_526
.LBB20_146:
	s_or_b64 exec, exec, s[8:9]
	s_and_saveexec_b64 s[8:9], s[68:69]
	s_xor_b64 s[8:9], exec, s[8:9]
	s_cbranch_execz .LBB20_527
.LBB20_147:
	v_cmp_neq_f32_e32 vcc, 0, v0
	v_cndmask_b32_e64 v1, 0, 1, vcc
	global_store_byte v[2:3], v1, off
	s_or_b64 exec, exec, s[8:9]
	s_and_saveexec_b64 s[8:9], s[6:7]
	s_xor_b64 s[6:7], exec, s[8:9]
	s_cbranch_execz .LBB20_565
	s_branch .LBB20_528
.LBB20_148:
                                        ; implicit-def: $vgpr21
                                        ; implicit-def: $vgpr2
	s_branch .LBB20_155
.LBB20_149:
	v_mov_b32_e32 v21, 0
	v_mov_b32_e32 v2, 0
	s_branch .LBB20_154
.LBB20_150:
	s_mov_b32 s30, 0
	v_mov_b32_e32 v21, 0
	v_mov_b32_e32 v2, 0
	;; [unrolled: 1-line block ×3, first 2 shown]
.LBB20_151:
	s_and_b32 s8, s31, 3
	s_cmp_eq_u32 s8, 0
	s_cbranch_scc1 .LBB20_154
; %bb.152:
	s_lshl_b32 s4, s30, 3
	s_add_u32 s4, s34, s4
	s_addc_u32 s5, s35, 0
	s_add_u32 s4, s4, 0xc4
	s_addc_u32 s5, s5, 0
	s_mul_i32 s6, s30, 12
	s_add_u32 s6, s34, s6
	s_addc_u32 s7, s35, 0
.LBB20_153:                             ; =>This Inner Loop Header: Depth=1
	s_load_dwordx2 s[10:11], s[6:7], 0x4
	s_load_dword s9, s[6:7], 0xc
	s_load_dwordx2 s[12:13], s[4:5], 0x0
	s_add_u32 s6, s6, 12
	s_addc_u32 s7, s7, 0
	s_waitcnt lgkmcnt(0)
	v_mul_hi_u32 v1, s11, v0
	s_add_u32 s4, s4, 8
	s_addc_u32 s5, s5, 0
	s_add_i32 s8, s8, -1
	v_add_u32_e32 v1, v0, v1
	v_lshrrev_b32_e32 v1, s9, v1
	v_mul_lo_u32 v3, v1, s10
	s_cmp_lg_u32 s8, 0
	v_sub_u32_e32 v0, v0, v3
	v_mad_u64_u32 v[21:22], s[10:11], v0, s12, v[21:22]
	v_mad_u64_u32 v[2:3], s[10:11], v0, s13, v[2:3]
	v_mov_b32_e32 v0, v1
	s_cbranch_scc1 .LBB20_153
.LBB20_154:
	s_cbranch_execnz .LBB20_157
.LBB20_155:
	s_waitcnt lgkmcnt(0)
	v_mul_hi_u32 v0, s45, v23
	s_andn2_b64 vcc, exec, s[56:57]
	v_add_u32_e32 v0, v23, v0
	v_lshrrev_b32_e32 v0, s46, v0
	v_mul_lo_u32 v1, v0, s44
	v_sub_u32_e32 v1, v23, v1
	v_mul_lo_u32 v21, v1, s40
	v_mul_lo_u32 v2, v1, s41
	s_cbranch_vccnz .LBB20_157
; %bb.156:
	v_mul_hi_u32 v1, s54, v0
	v_add_u32_e32 v1, v0, v1
	v_lshrrev_b32_e32 v1, s55, v1
	v_mul_lo_u32 v1, v1, s47
	v_sub_u32_e32 v0, v0, v1
	v_mad_u64_u32 v[21:22], s[4:5], v0, s42, v[21:22]
	v_mad_u64_u32 v[2:3], s[4:5], v0, s43, v[2:3]
.LBB20_157:
	s_getpc_b64 s[4:5]
	s_add_u32 s4, s4, _ZN2at6native6invokeIZZZNS0_12_GLOBAL__N_121bessel_j1_kernel_cudaERNS_18TensorIteratorBaseEENKUlvE_clEvENKUlvE0_clEvEUlfE_j15function_traitsIS7_EEENT1_11result_typeERKT_PrKPcPKT0_PKN3c1010ScalarTypeEi@rel32@lo+4
	s_addc_u32 s5, s5, _ZN2at6native6invokeIZZZNS0_12_GLOBAL__N_121bessel_j1_kernel_cudaERNS_18TensorIteratorBaseEENKUlvE_clEvENKUlvE0_clEvEUlfE_j15function_traitsIS7_EEENT1_11result_typeERKT_PrKPcPKT0_PKN3c1010ScalarTypeEi@rel32@hi+12
	s_waitcnt lgkmcnt(0)
	v_mov_b32_e32 v0, s38
	v_mov_b32_e32 v1, s39
	;; [unrolled: 1-line block ×3, first 2 shown]
	s_swappc_b64 s[30:31], s[4:5]
	v_mov_b32_e32 v1, s37
	s_and_b32 s12, s77, 0xff
	v_add_co_u32_e32 v2, vcc, s36, v21
	s_cmp_lt_i32 s12, 11
	v_addc_co_u32_e32 v3, vcc, 0, v1, vcc
	s_cbranch_scc1 .LBB20_164
; %bb.158:
	s_and_b32 s13, 0xffff, s12
	s_cmp_gt_i32 s13, 25
	s_cbranch_scc0 .LBB20_167
; %bb.159:
	s_cmp_gt_i32 s13, 28
	s_cbranch_scc0 .LBB20_168
; %bb.160:
	;; [unrolled: 3-line block ×4, first 2 shown]
	s_mov_b64 s[8:9], 0
	s_mov_b64 s[4:5], -1
	s_cmp_eq_u32 s13, 46
	s_mov_b64 s[6:7], 0
	s_cbranch_scc0 .LBB20_175
; %bb.163:
	v_bfe_u32 v1, v0, 16, 1
	s_movk_i32 s4, 0x7fff
	v_add3_u32 v1, v0, v1, s4
	v_cmp_o_f32_e32 vcc, v0, v0
	v_mov_b32_e32 v4, 0x7fc0
	v_cndmask_b32_sdwa v1, v4, v1, vcc dst_sel:DWORD dst_unused:UNUSED_PAD src0_sel:DWORD src1_sel:WORD_1
	global_store_dword v[2:3], v1, off
	s_mov_b64 s[6:7], -1
	s_mov_b64 s[4:5], 0
	s_branch .LBB20_175
.LBB20_164:
	s_mov_b64 s[6:7], 0
	s_mov_b64 s[4:5], s[62:63]
	s_cbranch_execnz .LBB20_244
.LBB20_165:
	s_andn2_b64 vcc, exec, s[6:7]
	s_cbranch_vccnz .LBB20_282
.LBB20_166:
	v_add_u32_e32 v23, 0x80, v23
	s_mov_b64 s[6:7], -1
	s_branch .LBB20_283
.LBB20_167:
	s_mov_b64 s[8:9], -1
	s_mov_b64 s[6:7], 0
	s_mov_b64 s[4:5], s[62:63]
	s_branch .LBB20_202
.LBB20_168:
	s_mov_b64 s[8:9], -1
	s_mov_b64 s[6:7], 0
	s_mov_b64 s[4:5], s[62:63]
	s_branch .LBB20_185
.LBB20_169:
	s_andn2_saveexec_b64 s[10:11], s[10:11]
	s_cbranch_execz .LBB20_51
.LBB20_170:
	s_mov_b32 s14, 0x46000000
	v_add_f32_e64 v1, |v0|, s14
	v_and_b32_e32 v1, 0xff, v1
	v_cmp_ne_u32_e32 vcc, 0, v1
	s_andn2_b64 s[8:9], s[8:9], exec
	s_and_b64 s[14:15], vcc, exec
	s_or_b64 s[8:9], s[8:9], s[14:15]
	s_or_b64 exec, exec, s[10:11]
	v_mov_b32_e32 v4, 0
	s_and_saveexec_b64 s[10:11], s[8:9]
	s_cbranch_execnz .LBB20_52
	s_branch .LBB20_53
.LBB20_171:
	s_mov_b64 s[8:9], -1
	s_mov_b64 s[6:7], 0
	s_mov_b64 s[4:5], s[62:63]
	s_branch .LBB20_181
.LBB20_172:
	s_andn2_saveexec_b64 s[10:11], s[10:11]
	s_cbranch_execz .LBB20_63
.LBB20_173:
	s_mov_b32 s14, 0x42800000
	v_add_f32_e64 v1, |v0|, s14
	v_and_b32_e32 v1, 0xff, v1
	v_cmp_ne_u32_e32 vcc, 0, v1
	s_andn2_b64 s[8:9], s[8:9], exec
	s_and_b64 s[14:15], vcc, exec
	s_or_b64 s[8:9], s[8:9], s[14:15]
	s_or_b64 exec, exec, s[10:11]
	v_mov_b32_e32 v4, 0
	s_and_saveexec_b64 s[10:11], s[8:9]
	s_cbranch_execnz .LBB20_64
	s_branch .LBB20_65
.LBB20_174:
	s_mov_b64 s[8:9], -1
	s_mov_b64 s[6:7], 0
	s_mov_b64 s[4:5], s[62:63]
.LBB20_175:
	s_and_b64 vcc, exec, s[8:9]
	s_cbranch_vccz .LBB20_180
; %bb.176:
	s_cmp_eq_u32 s13, 44
	s_mov_b64 s[4:5], -1
	s_cbranch_scc0 .LBB20_180
; %bb.177:
	v_bfe_u32 v1, v0, 23, 8
	s_movk_i32 s4, 0xff
	v_cmp_ne_u32_e32 vcc, s4, v1
	v_mov_b32_e32 v4, 0xff
	s_and_saveexec_b64 s[6:7], vcc
; %bb.178:
	s_mov_b32 s4, 0x3fffff
	v_and_b32_e32 v5, 0x400000, v0
	v_and_or_b32 v1, v0, s4, v1
	v_cmp_ne_u32_e32 vcc, 0, v5
	v_cmp_ne_u32_e64 s[4:5], 0, v1
	s_and_b64 s[4:5], vcc, s[4:5]
	v_lshrrev_b32_e32 v4, 23, v0
	v_cndmask_b32_e64 v1, 0, 1, s[4:5]
	v_add_u32_e32 v4, v4, v1
; %bb.179:
	s_or_b64 exec, exec, s[6:7]
	s_mov_b64 s[6:7], -1
	s_mov_b64 s[4:5], 0
	global_store_byte v[2:3], v4, off
.LBB20_180:
	s_mov_b64 s[8:9], 0
.LBB20_181:
	s_and_b64 vcc, exec, s[8:9]
	s_cbranch_vccz .LBB20_184
; %bb.182:
	s_cmp_eq_u32 s13, 29
	s_mov_b64 s[4:5], -1
	s_cbranch_scc0 .LBB20_184
; %bb.183:
	v_trunc_f32_e32 v1, v0
	v_mul_f32_e32 v4, 0x2f800000, v1
	v_floor_f32_e32 v4, v4
	v_fmac_f32_e32 v1, 0xcf800000, v4
	v_cvt_u32_f32_e32 v5, v4
	v_cvt_u32_f32_e32 v4, v1
	s_mov_b64 s[6:7], -1
	s_mov_b64 s[4:5], 0
	s_mov_b64 s[8:9], 0
	global_store_dwordx2 v[2:3], v[4:5], off
	s_branch .LBB20_185
.LBB20_184:
	s_mov_b64 s[8:9], 0
.LBB20_185:
	s_and_b64 vcc, exec, s[8:9]
	s_cbranch_vccz .LBB20_201
; %bb.186:
	s_cmp_lt_i32 s13, 27
	s_mov_b64 s[6:7], -1
	s_cbranch_scc1 .LBB20_192
; %bb.187:
	v_cvt_u32_f32_e32 v1, v0
	s_cmp_gt_i32 s13, 27
	s_cbranch_scc0 .LBB20_189
; %bb.188:
	s_mov_b64 s[6:7], 0
	global_store_dword v[2:3], v1, off
.LBB20_189:
	s_andn2_b64 vcc, exec, s[6:7]
	s_cbranch_vccnz .LBB20_191
; %bb.190:
	global_store_short v[2:3], v1, off
.LBB20_191:
	s_mov_b64 s[6:7], 0
.LBB20_192:
	s_andn2_b64 vcc, exec, s[6:7]
	s_cbranch_vccnz .LBB20_200
; %bb.193:
	v_and_b32_e32 v1, 0x7fffffff, v0
	s_mov_b32 s6, 0x43800000
	v_cmp_gt_u32_e32 vcc, s6, v1
	v_mov_b32_e32 v4, 0x80
	s_and_saveexec_b64 s[6:7], vcc
	s_cbranch_execz .LBB20_199
; %bb.194:
	s_mov_b32 s8, 0x3bffffff
	v_cmp_lt_u32_e32 vcc, s8, v1
	s_mov_b64 s[8:9], 0
                                        ; implicit-def: $vgpr1
	s_and_saveexec_b64 s[10:11], vcc
	s_xor_b64 s[10:11], exec, s[10:11]
	s_cbranch_execz .LBB20_311
; %bb.195:
	v_bfe_u32 v1, v0, 20, 1
	s_mov_b32 s14, 0x487ffff
	v_add3_u32 v1, v0, v1, s14
	s_mov_b64 s[8:9], exec
	v_lshrrev_b32_e32 v1, 20, v1
	s_andn2_saveexec_b64 s[10:11], s[10:11]
	s_cbranch_execnz .LBB20_312
.LBB20_196:
	s_or_b64 exec, exec, s[10:11]
	v_mov_b32_e32 v4, 0
	s_and_saveexec_b64 s[10:11], s[8:9]
.LBB20_197:
	v_lshrrev_b32_e32 v4, 24, v0
	s_movk_i32 s8, 0x80
	v_and_or_b32 v4, v4, s8, v1
.LBB20_198:
	s_or_b64 exec, exec, s[10:11]
.LBB20_199:
	s_or_b64 exec, exec, s[6:7]
	global_store_byte v[2:3], v4, off
.LBB20_200:
	s_mov_b64 s[6:7], -1
.LBB20_201:
	s_mov_b64 s[8:9], 0
.LBB20_202:
	s_and_b64 vcc, exec, s[8:9]
	s_cbranch_vccz .LBB20_243
; %bb.203:
	s_cmp_gt_i32 s13, 22
	s_mov_b64 s[8:9], -1
	s_cbranch_scc0 .LBB20_235
; %bb.204:
	s_cmp_lt_i32 s13, 24
	s_mov_b64 s[6:7], -1
	s_cbranch_scc1 .LBB20_224
; %bb.205:
	s_cmp_gt_i32 s13, 24
	s_cbranch_scc0 .LBB20_213
; %bb.206:
	v_and_b32_e32 v1, 0x7fffffff, v0
	s_mov_b32 s6, 0x47800000
	v_cmp_gt_u32_e32 vcc, s6, v1
	v_mov_b32_e32 v4, 0x80
	s_and_saveexec_b64 s[6:7], vcc
	s_cbranch_execz .LBB20_212
; %bb.207:
	s_mov_b32 s8, 0x37ffffff
	v_cmp_lt_u32_e32 vcc, s8, v1
	s_mov_b64 s[8:9], 0
                                        ; implicit-def: $vgpr1
	s_and_saveexec_b64 s[10:11], vcc
	s_xor_b64 s[10:11], exec, s[10:11]
	s_cbranch_execz .LBB20_314
; %bb.208:
	v_bfe_u32 v1, v0, 21, 1
	s_mov_b32 s14, 0x88fffff
	v_add3_u32 v1, v0, v1, s14
	s_mov_b64 s[8:9], exec
	v_lshrrev_b32_e32 v1, 21, v1
	s_andn2_saveexec_b64 s[10:11], s[10:11]
	s_cbranch_execnz .LBB20_315
.LBB20_209:
	s_or_b64 exec, exec, s[10:11]
	v_mov_b32_e32 v4, 0
	s_and_saveexec_b64 s[10:11], s[8:9]
.LBB20_210:
	v_lshrrev_b32_e32 v4, 24, v0
	s_movk_i32 s8, 0x80
	v_and_or_b32 v4, v4, s8, v1
.LBB20_211:
	s_or_b64 exec, exec, s[10:11]
.LBB20_212:
	s_or_b64 exec, exec, s[6:7]
	s_mov_b64 s[6:7], 0
	global_store_byte v[2:3], v4, off
.LBB20_213:
	s_and_b64 vcc, exec, s[6:7]
	s_cbranch_vccz .LBB20_223
; %bb.214:
	v_and_b32_e32 v4, 0x7fffffff, v0
	s_mov_b32 s6, 0x43f00000
	v_cmp_gt_u32_e32 vcc, s6, v4
                                        ; implicit-def: $vgpr1
	s_and_saveexec_b64 s[6:7], vcc
	s_xor_b64 s[6:7], exec, s[6:7]
	s_cbranch_execz .LBB20_220
; %bb.215:
	s_mov_b32 s8, 0x3c7fffff
	v_cmp_lt_u32_e32 vcc, s8, v4
                                        ; implicit-def: $vgpr1
	s_and_saveexec_b64 s[8:9], vcc
	s_xor_b64 s[8:9], exec, s[8:9]
; %bb.216:
	v_bfe_u32 v1, v0, 20, 1
	s_mov_b32 s10, 0x407ffff
	v_add3_u32 v1, v0, v1, s10
	v_lshrrev_b32_e32 v4, 20, v1
	v_and_b32_e32 v1, 0xff00000, v1
	s_mov_b32 s10, 0x7f00000
	v_mov_b32_e32 v5, 0x7e
	v_cmp_ne_u32_e32 vcc, s10, v1
	v_cndmask_b32_e32 v1, v5, v4, vcc
; %bb.217:
	s_andn2_saveexec_b64 s[8:9], s[8:9]
; %bb.218:
	s_mov_b32 s10, 0x46800000
	v_add_f32_e64 v1, |v0|, s10
; %bb.219:
	s_or_b64 exec, exec, s[8:9]
                                        ; implicit-def: $vgpr4
.LBB20_220:
	s_andn2_saveexec_b64 s[6:7], s[6:7]
; %bb.221:
	s_mov_b32 s8, 0x7f800000
	v_mov_b32_e32 v1, 0x7e
	v_mov_b32_e32 v5, 0x7f
	v_cmp_lt_u32_e32 vcc, s8, v4
	v_cndmask_b32_e32 v1, v1, v5, vcc
; %bb.222:
	s_or_b64 exec, exec, s[6:7]
	v_lshrrev_b32_e32 v4, 24, v0
	s_movk_i32 s6, 0x80
	v_and_or_b32 v1, v4, s6, v1
	global_store_byte v[2:3], v1, off
.LBB20_223:
	s_mov_b64 s[6:7], 0
.LBB20_224:
	s_andn2_b64 vcc, exec, s[6:7]
	s_cbranch_vccnz .LBB20_234
; %bb.225:
	v_and_b32_e32 v4, 0x7fffffff, v0
	s_mov_b32 s6, 0x47800000
	v_cmp_gt_u32_e32 vcc, s6, v4
                                        ; implicit-def: $vgpr1
	s_and_saveexec_b64 s[6:7], vcc
	s_xor_b64 s[6:7], exec, s[6:7]
	s_cbranch_execz .LBB20_231
; %bb.226:
	s_mov_b32 s8, 0x387fffff
	v_cmp_lt_u32_e32 vcc, s8, v4
                                        ; implicit-def: $vgpr1
	s_and_saveexec_b64 s[8:9], vcc
	s_xor_b64 s[8:9], exec, s[8:9]
; %bb.227:
	v_bfe_u32 v1, v0, 21, 1
	s_mov_b32 s10, 0x80fffff
	v_add3_u32 v1, v0, v1, s10
	v_lshrrev_b32_e32 v1, 21, v1
; %bb.228:
	s_andn2_saveexec_b64 s[8:9], s[8:9]
; %bb.229:
	s_mov_b32 s10, 0x43000000
	v_add_f32_e64 v1, |v0|, s10
; %bb.230:
	s_or_b64 exec, exec, s[8:9]
                                        ; implicit-def: $vgpr4
.LBB20_231:
	s_andn2_saveexec_b64 s[6:7], s[6:7]
; %bb.232:
	s_mov_b32 s8, 0x7f800000
	v_mov_b32_e32 v1, 0x7c
	v_mov_b32_e32 v5, 0x7f
	v_cmp_lt_u32_e32 vcc, s8, v4
	v_cndmask_b32_e32 v1, v1, v5, vcc
; %bb.233:
	s_or_b64 exec, exec, s[6:7]
	v_lshrrev_b32_e32 v4, 24, v0
	s_movk_i32 s6, 0x80
	v_and_or_b32 v1, v4, s6, v1
	global_store_byte v[2:3], v1, off
.LBB20_234:
	s_mov_b64 s[8:9], 0
	s_mov_b64 s[6:7], -1
.LBB20_235:
	s_andn2_b64 vcc, exec, s[8:9]
	s_cbranch_vccnz .LBB20_243
; %bb.236:
	s_cmp_gt_i32 s13, 14
	s_mov_b64 s[8:9], -1
	s_cbranch_scc0 .LBB20_240
; %bb.237:
	s_cmp_eq_u32 s13, 15
	s_mov_b64 s[4:5], -1
	s_cbranch_scc0 .LBB20_239
; %bb.238:
	v_bfe_u32 v1, v0, 16, 1
	s_movk_i32 s4, 0x7fff
	v_add3_u32 v1, v0, v1, s4
	v_cmp_o_f32_e32 vcc, v0, v0
	v_mov_b32_e32 v4, 0x7fc0
	v_cndmask_b32_sdwa v1, v4, v1, vcc dst_sel:DWORD dst_unused:UNUSED_PAD src0_sel:DWORD src1_sel:WORD_1
	global_store_short v[2:3], v1, off
	s_mov_b64 s[6:7], -1
	s_mov_b64 s[4:5], 0
.LBB20_239:
	s_mov_b64 s[8:9], 0
.LBB20_240:
	s_and_b64 vcc, exec, s[8:9]
	s_cbranch_vccz .LBB20_243
; %bb.241:
	s_cmp_eq_u32 s13, 11
	s_mov_b64 s[4:5], -1
	s_cbranch_scc0 .LBB20_243
; %bb.242:
	v_cmp_neq_f32_e32 vcc, 0, v0
	v_cndmask_b32_e64 v1, 0, 1, vcc
	s_mov_b64 s[6:7], -1
	s_mov_b64 s[4:5], 0
	global_store_byte v[2:3], v1, off
.LBB20_243:
	s_branch .LBB20_165
.LBB20_244:
	s_and_b32 s8, 0xffff, s12
	s_cmp_lt_i32 s8, 5
	s_mov_b64 s[6:7], -1
	s_cbranch_scc1 .LBB20_265
; %bb.245:
	s_cmp_lt_i32 s8, 8
	s_cbranch_scc1 .LBB20_255
; %bb.246:
	s_cmp_lt_i32 s8, 9
	s_cbranch_scc1 .LBB20_252
; %bb.247:
	s_cmp_gt_i32 s8, 9
	s_cbranch_scc0 .LBB20_249
; %bb.248:
	v_cvt_f64_f32_e32 v[4:5], v0
	v_mov_b32_e32 v6, 0
	v_mov_b32_e32 v7, v6
	s_mov_b64 s[6:7], 0
	global_store_dwordx4 v[2:3], v[4:7], off
.LBB20_249:
	s_andn2_b64 vcc, exec, s[6:7]
	s_cbranch_vccnz .LBB20_251
; %bb.250:
	v_mov_b32_e32 v1, 0
	global_store_dwordx2 v[2:3], v[0:1], off
.LBB20_251:
	s_mov_b64 s[6:7], 0
.LBB20_252:
	s_andn2_b64 vcc, exec, s[6:7]
	s_cbranch_vccnz .LBB20_254
; %bb.253:
	v_cvt_f16_f32_e32 v1, v0
	global_store_dword v[2:3], v1, off
.LBB20_254:
	s_mov_b64 s[6:7], 0
.LBB20_255:
	s_andn2_b64 vcc, exec, s[6:7]
	s_cbranch_vccnz .LBB20_264
; %bb.256:
	s_cmp_lt_i32 s8, 6
	s_mov_b64 s[6:7], -1
	s_cbranch_scc1 .LBB20_262
; %bb.257:
	s_cmp_gt_i32 s8, 6
	s_cbranch_scc0 .LBB20_259
; %bb.258:
	v_cvt_f64_f32_e32 v[4:5], v0
	s_mov_b64 s[6:7], 0
	global_store_dwordx2 v[2:3], v[4:5], off
.LBB20_259:
	s_andn2_b64 vcc, exec, s[6:7]
	s_cbranch_vccnz .LBB20_261
; %bb.260:
	global_store_dword v[2:3], v0, off
.LBB20_261:
	s_mov_b64 s[6:7], 0
.LBB20_262:
	s_andn2_b64 vcc, exec, s[6:7]
	s_cbranch_vccnz .LBB20_264
; %bb.263:
	v_cvt_f16_f32_e32 v1, v0
	global_store_short v[2:3], v1, off
.LBB20_264:
	s_mov_b64 s[6:7], 0
.LBB20_265:
	s_andn2_b64 vcc, exec, s[6:7]
	s_cbranch_vccnz .LBB20_281
; %bb.266:
	s_cmp_lt_i32 s8, 2
	s_mov_b64 s[6:7], -1
	s_cbranch_scc1 .LBB20_276
; %bb.267:
	s_cmp_lt_i32 s8, 3
	s_cbranch_scc1 .LBB20_273
; %bb.268:
	s_cmp_gt_i32 s8, 3
	s_cbranch_scc0 .LBB20_270
; %bb.269:
	v_trunc_f32_e32 v1, v0
	s_mov_b32 s6, 0x2f800000
	v_mul_f32_e64 v4, |v1|, s6
	v_floor_f32_e32 v4, v4
	s_mov_b32 s6, 0xcf800000
	v_cvt_u32_f32_e32 v5, v4
	v_fma_f32 v4, v4, s6, |v1|
	v_cvt_u32_f32_e32 v4, v4
	v_ashrrev_i32_e32 v1, 31, v1
	v_xor_b32_e32 v5, v5, v1
	s_mov_b64 s[6:7], 0
	v_xor_b32_e32 v4, v4, v1
	v_sub_co_u32_e32 v4, vcc, v4, v1
	v_subb_co_u32_e32 v5, vcc, v5, v1, vcc
	global_store_dwordx2 v[2:3], v[4:5], off
.LBB20_270:
	s_andn2_b64 vcc, exec, s[6:7]
	s_cbranch_vccnz .LBB20_272
; %bb.271:
	v_cvt_i32_f32_e32 v1, v0
	global_store_dword v[2:3], v1, off
.LBB20_272:
	s_mov_b64 s[6:7], 0
.LBB20_273:
	s_andn2_b64 vcc, exec, s[6:7]
	s_cbranch_vccnz .LBB20_275
; %bb.274:
	v_cvt_i32_f32_e32 v1, v0
	global_store_short v[2:3], v1, off
.LBB20_275:
	s_mov_b64 s[6:7], 0
.LBB20_276:
	s_andn2_b64 vcc, exec, s[6:7]
	s_cbranch_vccnz .LBB20_281
; %bb.277:
	s_cmp_gt_i32 s8, 0
	s_mov_b64 s[6:7], -1
	s_cbranch_scc0 .LBB20_279
; %bb.278:
	v_cvt_i32_f32_e32 v1, v0
	s_mov_b64 s[6:7], 0
	global_store_byte v[2:3], v1, off
.LBB20_279:
	s_andn2_b64 vcc, exec, s[6:7]
	s_cbranch_vccnz .LBB20_281
; %bb.280:
	v_trunc_f32_e32 v0, v0
	s_mov_b32 s6, 0x2f800000
	v_mul_f32_e64 v1, |v0|, s6
	v_floor_f32_e32 v1, v1
	s_mov_b32 s6, 0xcf800000
	v_fma_f32 v1, v1, s6, |v0|
	v_cvt_u32_f32_e32 v1, v1
	v_ashrrev_i32_e32 v0, 31, v0
	v_xor_b32_e32 v1, v1, v0
	v_sub_u32_e32 v0, v1, v0
	global_store_byte v[2:3], v0, off
.LBB20_281:
	s_branch .LBB20_166
.LBB20_282:
	s_mov_b64 s[6:7], 0
                                        ; implicit-def: $vgpr23
.LBB20_283:
	s_andn2_b64 s[8:9], s[62:63], exec
	s_and_b64 s[4:5], s[4:5], exec
	s_or_b64 s[66:67], s[8:9], s[4:5]
	s_orn2_b64 s[8:9], s[6:7], exec
.LBB20_284:
	s_or_b64 exec, exec, s[68:69]
	s_mov_b64 s[4:5], 0
	s_mov_b64 s[6:7], 0
                                        ; implicit-def: $sgpr14
                                        ; implicit-def: $vgpr2_vgpr3
                                        ; implicit-def: $vgpr0
	s_and_saveexec_b64 s[68:69], s[8:9]
	s_cbranch_execz .LBB20_525
; %bb.285:
	v_cmp_gt_i32_e32 vcc, s74, v23
	s_mov_b64 s[6:7], -1
	s_mov_b64 s[72:73], s[66:67]
	s_and_saveexec_b64 s[70:71], vcc
	s_cbranch_execz .LBB20_429
; %bb.286:
	s_andn2_b64 vcc, exec, s[50:51]
	s_cbranch_vccnz .LBB20_291
; %bb.287:
	s_andn2_b64 vcc, exec, s[60:61]
	s_cbranch_vccnz .LBB20_292
; %bb.288:
	s_add_i32 s31, s78, 1
	s_cmp_eq_u32 s76, 2
	s_cbranch_scc1 .LBB20_293
; %bb.289:
	s_and_b32 s30, s31, 28
	v_mov_b32_e32 v2, 0
	s_mov_b32 s72, 0
	s_mov_b64 s[24:25], s[34:35]
	s_mov_b64 s[26:27], s[58:59]
	v_mov_b32_e32 v21, 0
	v_mov_b32_e32 v0, v23
.LBB20_290:                             ; =>This Inner Loop Header: Depth=1
	s_load_dwordx8 s[12:19], s[24:25], 0x4
	s_load_dwordx4 s[20:23], s[24:25], 0x24
	s_load_dwordx8 s[4:11], s[26:27], 0x0
	s_add_u32 s24, s24, 48
	s_addc_u32 s25, s25, 0
	s_waitcnt lgkmcnt(0)
	v_mul_hi_u32 v1, s13, v0
	s_add_i32 s72, s72, 4
	s_add_u32 s26, s26, 32
	s_addc_u32 s27, s27, 0
	v_add_u32_e32 v1, v0, v1
	v_lshrrev_b32_e32 v1, s14, v1
	v_mul_lo_u32 v3, v1, s12
	v_mul_hi_u32 v4, s16, v1
	s_cmp_eq_u32 s30, s72
	v_sub_u32_e32 v0, v0, v3
	v_add_u32_e32 v3, v1, v4
	v_mul_lo_u32 v4, v0, s4
	v_mul_lo_u32 v5, v0, s5
	v_lshrrev_b32_e32 v0, s17, v3
	v_mul_lo_u32 v3, v0, s15
	v_mul_hi_u32 v6, s19, v0
	v_sub_u32_e32 v1, v1, v3
	v_add_u32_e32 v3, v0, v6
	v_lshrrev_b32_e32 v3, s20, v3
	v_mul_hi_u32 v7, s22, v3
	v_mul_lo_u32 v8, v3, s18
	v_mul_lo_u32 v6, v1, s6
	;; [unrolled: 1-line block ×3, first 2 shown]
	v_sub_u32_e32 v8, v0, v8
	v_add_u32_e32 v0, v3, v7
	v_lshrrev_b32_e32 v0, s23, v0
	v_mul_lo_u32 v7, v0, s21
	v_mul_lo_u32 v9, v8, s8
	;; [unrolled: 1-line block ×3, first 2 shown]
	v_add3_u32 v4, v4, v21, v6
	v_sub_u32_e32 v3, v3, v7
	v_mul_lo_u32 v7, v3, s10
	v_mul_lo_u32 v3, v3, s11
	v_add3_u32 v1, v5, v2, v1
	v_add3_u32 v21, v9, v4, v7
	;; [unrolled: 1-line block ×3, first 2 shown]
	s_cbranch_scc0 .LBB20_290
	s_branch .LBB20_294
.LBB20_291:
	s_mov_b64 s[4:5], -1
                                        ; implicit-def: $vgpr21
                                        ; implicit-def: $vgpr2
	s_branch .LBB20_298
.LBB20_292:
	v_mov_b32_e32 v21, 0
	v_mov_b32_e32 v2, 0
	s_branch .LBB20_297
.LBB20_293:
	s_mov_b32 s30, 0
	v_mov_b32_e32 v21, 0
	v_mov_b32_e32 v2, 0
	;; [unrolled: 1-line block ×3, first 2 shown]
.LBB20_294:
	s_and_b32 s8, s31, 3
	s_cmp_eq_u32 s8, 0
	s_cbranch_scc1 .LBB20_297
; %bb.295:
	s_lshl_b32 s4, s30, 3
	s_add_u32 s4, s34, s4
	s_addc_u32 s5, s35, 0
	s_add_u32 s4, s4, 0xc4
	s_addc_u32 s5, s5, 0
	s_mul_i32 s6, s30, 12
	s_add_u32 s6, s34, s6
	s_addc_u32 s7, s35, 0
.LBB20_296:                             ; =>This Inner Loop Header: Depth=1
	s_load_dwordx2 s[10:11], s[6:7], 0x4
	s_load_dword s9, s[6:7], 0xc
	s_load_dwordx2 s[12:13], s[4:5], 0x0
	s_add_u32 s6, s6, 12
	s_addc_u32 s7, s7, 0
	s_waitcnt lgkmcnt(0)
	v_mul_hi_u32 v1, s11, v0
	s_add_u32 s4, s4, 8
	s_addc_u32 s5, s5, 0
	s_add_i32 s8, s8, -1
	v_add_u32_e32 v1, v0, v1
	v_lshrrev_b32_e32 v1, s9, v1
	v_mul_lo_u32 v3, v1, s10
	s_cmp_lg_u32 s8, 0
	v_sub_u32_e32 v0, v0, v3
	v_mad_u64_u32 v[21:22], s[10:11], v0, s12, v[21:22]
	v_mad_u64_u32 v[2:3], s[10:11], v0, s13, v[2:3]
	v_mov_b32_e32 v0, v1
	s_cbranch_scc1 .LBB20_296
.LBB20_297:
	s_mov_b64 s[4:5], 0
.LBB20_298:
	s_andn2_b64 vcc, exec, s[4:5]
	s_cbranch_vccnz .LBB20_301
; %bb.299:
	s_waitcnt lgkmcnt(0)
	v_mul_hi_u32 v0, s45, v23
	s_andn2_b64 vcc, exec, s[56:57]
	v_add_u32_e32 v0, v23, v0
	v_lshrrev_b32_e32 v0, s46, v0
	v_mul_lo_u32 v1, v0, s44
	v_sub_u32_e32 v1, v23, v1
	v_mul_lo_u32 v21, v1, s40
	v_mul_lo_u32 v2, v1, s41
	s_cbranch_vccnz .LBB20_301
; %bb.300:
	v_mul_hi_u32 v1, s54, v0
	v_add_u32_e32 v1, v0, v1
	v_lshrrev_b32_e32 v1, s55, v1
	v_mul_lo_u32 v1, v1, s47
	v_sub_u32_e32 v0, v0, v1
	v_mad_u64_u32 v[21:22], s[4:5], v0, s42, v[21:22]
	v_mad_u64_u32 v[2:3], s[4:5], v0, s43, v[2:3]
.LBB20_301:
	s_getpc_b64 s[4:5]
	s_add_u32 s4, s4, _ZN2at6native6invokeIZZZNS0_12_GLOBAL__N_121bessel_j1_kernel_cudaERNS_18TensorIteratorBaseEENKUlvE_clEvENKUlvE0_clEvEUlfE_j15function_traitsIS7_EEENT1_11result_typeERKT_PrKPcPKT0_PKN3c1010ScalarTypeEi@rel32@lo+4
	s_addc_u32 s5, s5, _ZN2at6native6invokeIZZZNS0_12_GLOBAL__N_121bessel_j1_kernel_cudaERNS_18TensorIteratorBaseEENKUlvE_clEvENKUlvE0_clEvEUlfE_j15function_traitsIS7_EEENT1_11result_typeERKT_PrKPcPKT0_PKN3c1010ScalarTypeEi@rel32@hi+12
	s_waitcnt lgkmcnt(0)
	v_mov_b32_e32 v0, s38
	v_mov_b32_e32 v1, s39
	;; [unrolled: 1-line block ×3, first 2 shown]
	s_swappc_b64 s[30:31], s[4:5]
	v_mov_b32_e32 v1, s37
	s_and_b32 s12, s77, 0xff
	v_add_co_u32_e32 v2, vcc, s36, v21
	s_cmp_lt_i32 s12, 11
	v_addc_co_u32_e32 v3, vcc, 0, v1, vcc
	s_cbranch_scc1 .LBB20_308
; %bb.302:
	s_and_b32 s13, 0xffff, s12
	s_cmp_gt_i32 s13, 25
	s_cbranch_scc0 .LBB20_309
; %bb.303:
	s_cmp_gt_i32 s13, 28
	s_cbranch_scc0 .LBB20_310
; %bb.304:
	;; [unrolled: 3-line block ×4, first 2 shown]
	s_mov_b64 s[8:9], 0
	s_mov_b64 s[4:5], -1
	s_cmp_eq_u32 s13, 46
	s_mov_b64 s[6:7], 0
	s_cbranch_scc0 .LBB20_317
; %bb.307:
	v_bfe_u32 v1, v0, 16, 1
	s_movk_i32 s4, 0x7fff
	v_add3_u32 v1, v0, v1, s4
	v_cmp_o_f32_e32 vcc, v0, v0
	v_mov_b32_e32 v4, 0x7fc0
	v_cndmask_b32_sdwa v1, v4, v1, vcc dst_sel:DWORD dst_unused:UNUSED_PAD src0_sel:DWORD src1_sel:WORD_1
	global_store_dword v[2:3], v1, off
	s_mov_b64 s[6:7], -1
	s_mov_b64 s[4:5], 0
	s_branch .LBB20_317
.LBB20_308:
	s_mov_b64 s[8:9], -1
	s_mov_b64 s[6:7], 0
	s_mov_b64 s[4:5], s[66:67]
	s_branch .LBB20_386
.LBB20_309:
	s_mov_b64 s[8:9], -1
	s_mov_b64 s[6:7], 0
	s_mov_b64 s[4:5], s[66:67]
	s_branch .LBB20_344
.LBB20_310:
	s_mov_b64 s[8:9], -1
	s_mov_b64 s[6:7], 0
	s_mov_b64 s[4:5], s[66:67]
	s_branch .LBB20_327
.LBB20_311:
	s_andn2_saveexec_b64 s[10:11], s[10:11]
	s_cbranch_execz .LBB20_196
.LBB20_312:
	s_mov_b32 s14, 0x46000000
	v_add_f32_e64 v1, |v0|, s14
	v_and_b32_e32 v1, 0xff, v1
	v_cmp_ne_u32_e32 vcc, 0, v1
	s_andn2_b64 s[8:9], s[8:9], exec
	s_and_b64 s[14:15], vcc, exec
	s_or_b64 s[8:9], s[8:9], s[14:15]
	s_or_b64 exec, exec, s[10:11]
	v_mov_b32_e32 v4, 0
	s_and_saveexec_b64 s[10:11], s[8:9]
	s_cbranch_execnz .LBB20_197
	s_branch .LBB20_198
.LBB20_313:
	s_mov_b64 s[8:9], -1
	s_mov_b64 s[6:7], 0
	s_mov_b64 s[4:5], s[66:67]
	s_branch .LBB20_323
.LBB20_314:
	s_andn2_saveexec_b64 s[10:11], s[10:11]
	s_cbranch_execz .LBB20_209
.LBB20_315:
	s_mov_b32 s14, 0x42800000
	v_add_f32_e64 v1, |v0|, s14
	v_and_b32_e32 v1, 0xff, v1
	v_cmp_ne_u32_e32 vcc, 0, v1
	s_andn2_b64 s[8:9], s[8:9], exec
	s_and_b64 s[14:15], vcc, exec
	s_or_b64 s[8:9], s[8:9], s[14:15]
	s_or_b64 exec, exec, s[10:11]
	v_mov_b32_e32 v4, 0
	s_and_saveexec_b64 s[10:11], s[8:9]
	s_cbranch_execnz .LBB20_210
	s_branch .LBB20_211
.LBB20_316:
	s_mov_b64 s[8:9], -1
	s_mov_b64 s[6:7], 0
	s_mov_b64 s[4:5], s[66:67]
.LBB20_317:
	s_and_b64 vcc, exec, s[8:9]
	s_cbranch_vccz .LBB20_322
; %bb.318:
	s_cmp_eq_u32 s13, 44
	s_mov_b64 s[4:5], -1
	s_cbranch_scc0 .LBB20_322
; %bb.319:
	v_bfe_u32 v1, v0, 23, 8
	s_movk_i32 s4, 0xff
	v_cmp_ne_u32_e32 vcc, s4, v1
	v_mov_b32_e32 v4, 0xff
	s_and_saveexec_b64 s[6:7], vcc
; %bb.320:
	s_mov_b32 s4, 0x3fffff
	v_and_b32_e32 v5, 0x400000, v0
	v_and_or_b32 v1, v0, s4, v1
	v_cmp_ne_u32_e32 vcc, 0, v5
	v_cmp_ne_u32_e64 s[4:5], 0, v1
	s_and_b64 s[4:5], vcc, s[4:5]
	v_lshrrev_b32_e32 v4, 23, v0
	v_cndmask_b32_e64 v1, 0, 1, s[4:5]
	v_add_u32_e32 v4, v4, v1
; %bb.321:
	s_or_b64 exec, exec, s[6:7]
	s_mov_b64 s[6:7], -1
	s_mov_b64 s[4:5], 0
	global_store_byte v[2:3], v4, off
.LBB20_322:
	s_mov_b64 s[8:9], 0
.LBB20_323:
	s_and_b64 vcc, exec, s[8:9]
	s_cbranch_vccz .LBB20_326
; %bb.324:
	s_cmp_eq_u32 s13, 29
	s_mov_b64 s[4:5], -1
	s_cbranch_scc0 .LBB20_326
; %bb.325:
	v_trunc_f32_e32 v1, v0
	v_mul_f32_e32 v4, 0x2f800000, v1
	v_floor_f32_e32 v4, v4
	v_fmac_f32_e32 v1, 0xcf800000, v4
	v_cvt_u32_f32_e32 v5, v4
	v_cvt_u32_f32_e32 v4, v1
	s_mov_b64 s[6:7], -1
	s_mov_b64 s[4:5], 0
	s_mov_b64 s[8:9], 0
	global_store_dwordx2 v[2:3], v[4:5], off
	s_branch .LBB20_327
.LBB20_326:
	s_mov_b64 s[8:9], 0
.LBB20_327:
	s_and_b64 vcc, exec, s[8:9]
	s_cbranch_vccz .LBB20_343
; %bb.328:
	s_cmp_lt_i32 s13, 27
	s_mov_b64 s[6:7], -1
	s_cbranch_scc1 .LBB20_334
; %bb.329:
	v_cvt_u32_f32_e32 v1, v0
	s_cmp_gt_i32 s13, 27
	s_cbranch_scc0 .LBB20_331
; %bb.330:
	s_mov_b64 s[6:7], 0
	global_store_dword v[2:3], v1, off
.LBB20_331:
	s_andn2_b64 vcc, exec, s[6:7]
	s_cbranch_vccnz .LBB20_333
; %bb.332:
	global_store_short v[2:3], v1, off
.LBB20_333:
	s_mov_b64 s[6:7], 0
.LBB20_334:
	s_andn2_b64 vcc, exec, s[6:7]
	s_cbranch_vccnz .LBB20_342
; %bb.335:
	v_and_b32_e32 v1, 0x7fffffff, v0
	s_mov_b32 s6, 0x43800000
	v_cmp_gt_u32_e32 vcc, s6, v1
	v_mov_b32_e32 v4, 0x80
	s_and_saveexec_b64 s[6:7], vcc
	s_cbranch_execz .LBB20_341
; %bb.336:
	s_mov_b32 s8, 0x3bffffff
	v_cmp_lt_u32_e32 vcc, s8, v1
	s_mov_b64 s[8:9], 0
                                        ; implicit-def: $vgpr1
	s_and_saveexec_b64 s[10:11], vcc
	s_xor_b64 s[10:11], exec, s[10:11]
	s_cbranch_execz .LBB20_1112
; %bb.337:
	v_bfe_u32 v1, v0, 20, 1
	s_mov_b32 s14, 0x487ffff
	v_add3_u32 v1, v0, v1, s14
	s_mov_b64 s[8:9], exec
	v_lshrrev_b32_e32 v1, 20, v1
	s_andn2_saveexec_b64 s[10:11], s[10:11]
	s_cbranch_execnz .LBB20_1113
.LBB20_338:
	s_or_b64 exec, exec, s[10:11]
	v_mov_b32_e32 v4, 0
	s_and_saveexec_b64 s[10:11], s[8:9]
.LBB20_339:
	v_lshrrev_b32_e32 v4, 24, v0
	s_movk_i32 s8, 0x80
	v_and_or_b32 v4, v4, s8, v1
.LBB20_340:
	s_or_b64 exec, exec, s[10:11]
.LBB20_341:
	s_or_b64 exec, exec, s[6:7]
	global_store_byte v[2:3], v4, off
.LBB20_342:
	s_mov_b64 s[6:7], -1
.LBB20_343:
	s_mov_b64 s[8:9], 0
.LBB20_344:
	s_and_b64 vcc, exec, s[8:9]
	s_cbranch_vccz .LBB20_385
; %bb.345:
	s_cmp_gt_i32 s13, 22
	s_mov_b64 s[8:9], -1
	s_cbranch_scc0 .LBB20_377
; %bb.346:
	s_cmp_lt_i32 s13, 24
	s_mov_b64 s[6:7], -1
	s_cbranch_scc1 .LBB20_366
; %bb.347:
	s_cmp_gt_i32 s13, 24
	s_cbranch_scc0 .LBB20_355
; %bb.348:
	v_and_b32_e32 v1, 0x7fffffff, v0
	s_mov_b32 s6, 0x47800000
	v_cmp_gt_u32_e32 vcc, s6, v1
	v_mov_b32_e32 v4, 0x80
	s_and_saveexec_b64 s[6:7], vcc
	s_cbranch_execz .LBB20_354
; %bb.349:
	s_mov_b32 s8, 0x37ffffff
	v_cmp_lt_u32_e32 vcc, s8, v1
	s_mov_b64 s[8:9], 0
                                        ; implicit-def: $vgpr1
	s_and_saveexec_b64 s[10:11], vcc
	s_xor_b64 s[10:11], exec, s[10:11]
	s_cbranch_execz .LBB20_1119
; %bb.350:
	v_bfe_u32 v1, v0, 21, 1
	s_mov_b32 s14, 0x88fffff
	v_add3_u32 v1, v0, v1, s14
	s_mov_b64 s[8:9], exec
	v_lshrrev_b32_e32 v1, 21, v1
	s_andn2_saveexec_b64 s[10:11], s[10:11]
	s_cbranch_execnz .LBB20_1120
.LBB20_351:
	s_or_b64 exec, exec, s[10:11]
	v_mov_b32_e32 v4, 0
	s_and_saveexec_b64 s[10:11], s[8:9]
.LBB20_352:
	v_lshrrev_b32_e32 v4, 24, v0
	s_movk_i32 s8, 0x80
	v_and_or_b32 v4, v4, s8, v1
.LBB20_353:
	s_or_b64 exec, exec, s[10:11]
.LBB20_354:
	s_or_b64 exec, exec, s[6:7]
	s_mov_b64 s[6:7], 0
	global_store_byte v[2:3], v4, off
.LBB20_355:
	s_and_b64 vcc, exec, s[6:7]
	s_cbranch_vccz .LBB20_365
; %bb.356:
	v_and_b32_e32 v4, 0x7fffffff, v0
	s_mov_b32 s6, 0x43f00000
	v_cmp_gt_u32_e32 vcc, s6, v4
                                        ; implicit-def: $vgpr1
	s_and_saveexec_b64 s[6:7], vcc
	s_xor_b64 s[6:7], exec, s[6:7]
	s_cbranch_execz .LBB20_362
; %bb.357:
	s_mov_b32 s8, 0x3c7fffff
	v_cmp_lt_u32_e32 vcc, s8, v4
                                        ; implicit-def: $vgpr1
	s_and_saveexec_b64 s[8:9], vcc
	s_xor_b64 s[8:9], exec, s[8:9]
; %bb.358:
	v_bfe_u32 v1, v0, 20, 1
	s_mov_b32 s10, 0x407ffff
	v_add3_u32 v1, v0, v1, s10
	v_lshrrev_b32_e32 v4, 20, v1
	v_and_b32_e32 v1, 0xff00000, v1
	s_mov_b32 s10, 0x7f00000
	v_mov_b32_e32 v5, 0x7e
	v_cmp_ne_u32_e32 vcc, s10, v1
	v_cndmask_b32_e32 v1, v5, v4, vcc
; %bb.359:
	s_andn2_saveexec_b64 s[8:9], s[8:9]
; %bb.360:
	s_mov_b32 s10, 0x46800000
	v_add_f32_e64 v1, |v0|, s10
; %bb.361:
	s_or_b64 exec, exec, s[8:9]
                                        ; implicit-def: $vgpr4
.LBB20_362:
	s_andn2_saveexec_b64 s[6:7], s[6:7]
; %bb.363:
	s_mov_b32 s8, 0x7f800000
	v_mov_b32_e32 v1, 0x7e
	v_mov_b32_e32 v5, 0x7f
	v_cmp_lt_u32_e32 vcc, s8, v4
	v_cndmask_b32_e32 v1, v1, v5, vcc
; %bb.364:
	s_or_b64 exec, exec, s[6:7]
	v_lshrrev_b32_e32 v4, 24, v0
	s_movk_i32 s6, 0x80
	v_and_or_b32 v1, v4, s6, v1
	global_store_byte v[2:3], v1, off
.LBB20_365:
	s_mov_b64 s[6:7], 0
.LBB20_366:
	s_andn2_b64 vcc, exec, s[6:7]
	s_cbranch_vccnz .LBB20_376
; %bb.367:
	v_and_b32_e32 v4, 0x7fffffff, v0
	s_mov_b32 s6, 0x47800000
	v_cmp_gt_u32_e32 vcc, s6, v4
                                        ; implicit-def: $vgpr1
	s_and_saveexec_b64 s[6:7], vcc
	s_xor_b64 s[6:7], exec, s[6:7]
	s_cbranch_execz .LBB20_373
; %bb.368:
	s_mov_b32 s8, 0x387fffff
	v_cmp_lt_u32_e32 vcc, s8, v4
                                        ; implicit-def: $vgpr1
	s_and_saveexec_b64 s[8:9], vcc
	s_xor_b64 s[8:9], exec, s[8:9]
; %bb.369:
	v_bfe_u32 v1, v0, 21, 1
	s_mov_b32 s10, 0x80fffff
	v_add3_u32 v1, v0, v1, s10
	v_lshrrev_b32_e32 v1, 21, v1
; %bb.370:
	s_andn2_saveexec_b64 s[8:9], s[8:9]
; %bb.371:
	s_mov_b32 s10, 0x43000000
	v_add_f32_e64 v1, |v0|, s10
; %bb.372:
	s_or_b64 exec, exec, s[8:9]
                                        ; implicit-def: $vgpr4
.LBB20_373:
	s_andn2_saveexec_b64 s[6:7], s[6:7]
; %bb.374:
	s_mov_b32 s8, 0x7f800000
	v_mov_b32_e32 v1, 0x7c
	v_mov_b32_e32 v5, 0x7f
	v_cmp_lt_u32_e32 vcc, s8, v4
	v_cndmask_b32_e32 v1, v1, v5, vcc
; %bb.375:
	s_or_b64 exec, exec, s[6:7]
	v_lshrrev_b32_e32 v4, 24, v0
	s_movk_i32 s6, 0x80
	v_and_or_b32 v1, v4, s6, v1
	global_store_byte v[2:3], v1, off
.LBB20_376:
	s_mov_b64 s[8:9], 0
	s_mov_b64 s[6:7], -1
.LBB20_377:
	s_andn2_b64 vcc, exec, s[8:9]
	s_cbranch_vccnz .LBB20_385
; %bb.378:
	s_cmp_gt_i32 s13, 14
	s_mov_b64 s[8:9], -1
	s_cbranch_scc0 .LBB20_382
; %bb.379:
	s_cmp_eq_u32 s13, 15
	s_mov_b64 s[4:5], -1
	s_cbranch_scc0 .LBB20_381
; %bb.380:
	v_bfe_u32 v1, v0, 16, 1
	s_movk_i32 s4, 0x7fff
	v_add3_u32 v1, v0, v1, s4
	v_cmp_o_f32_e32 vcc, v0, v0
	v_mov_b32_e32 v4, 0x7fc0
	v_cndmask_b32_sdwa v1, v4, v1, vcc dst_sel:DWORD dst_unused:UNUSED_PAD src0_sel:DWORD src1_sel:WORD_1
	global_store_short v[2:3], v1, off
	s_mov_b64 s[6:7], -1
	s_mov_b64 s[4:5], 0
.LBB20_381:
	s_mov_b64 s[8:9], 0
.LBB20_382:
	s_and_b64 vcc, exec, s[8:9]
	s_cbranch_vccz .LBB20_385
; %bb.383:
	s_cmp_eq_u32 s13, 11
	s_mov_b64 s[4:5], -1
	s_cbranch_scc0 .LBB20_385
; %bb.384:
	v_cmp_neq_f32_e32 vcc, 0, v0
	v_cndmask_b32_e64 v1, 0, 1, vcc
	s_mov_b64 s[6:7], -1
	s_mov_b64 s[4:5], 0
	global_store_byte v[2:3], v1, off
.LBB20_385:
	s_mov_b64 s[8:9], 0
.LBB20_386:
	s_and_b64 vcc, exec, s[8:9]
	s_cbranch_vccz .LBB20_425
; %bb.387:
	s_and_b32 s8, 0xffff, s12
	s_cmp_lt_i32 s8, 5
	s_mov_b64 s[6:7], -1
	s_cbranch_scc1 .LBB20_408
; %bb.388:
	s_cmp_lt_i32 s8, 8
	s_cbranch_scc1 .LBB20_398
; %bb.389:
	s_cmp_lt_i32 s8, 9
	s_cbranch_scc1 .LBB20_395
; %bb.390:
	s_cmp_gt_i32 s8, 9
	s_cbranch_scc0 .LBB20_392
; %bb.391:
	v_cvt_f64_f32_e32 v[4:5], v0
	v_mov_b32_e32 v6, 0
	v_mov_b32_e32 v7, v6
	s_mov_b64 s[6:7], 0
	global_store_dwordx4 v[2:3], v[4:7], off
.LBB20_392:
	s_andn2_b64 vcc, exec, s[6:7]
	s_cbranch_vccnz .LBB20_394
; %bb.393:
	v_mov_b32_e32 v1, 0
	global_store_dwordx2 v[2:3], v[0:1], off
.LBB20_394:
	s_mov_b64 s[6:7], 0
.LBB20_395:
	s_andn2_b64 vcc, exec, s[6:7]
	s_cbranch_vccnz .LBB20_397
; %bb.396:
	v_cvt_f16_f32_e32 v1, v0
	global_store_dword v[2:3], v1, off
.LBB20_397:
	s_mov_b64 s[6:7], 0
.LBB20_398:
	s_andn2_b64 vcc, exec, s[6:7]
	s_cbranch_vccnz .LBB20_407
; %bb.399:
	s_cmp_lt_i32 s8, 6
	s_mov_b64 s[6:7], -1
	s_cbranch_scc1 .LBB20_405
; %bb.400:
	s_cmp_gt_i32 s8, 6
	s_cbranch_scc0 .LBB20_402
; %bb.401:
	v_cvt_f64_f32_e32 v[4:5], v0
	s_mov_b64 s[6:7], 0
	global_store_dwordx2 v[2:3], v[4:5], off
.LBB20_402:
	s_andn2_b64 vcc, exec, s[6:7]
	s_cbranch_vccnz .LBB20_404
; %bb.403:
	global_store_dword v[2:3], v0, off
.LBB20_404:
	s_mov_b64 s[6:7], 0
.LBB20_405:
	s_andn2_b64 vcc, exec, s[6:7]
	s_cbranch_vccnz .LBB20_407
; %bb.406:
	v_cvt_f16_f32_e32 v1, v0
	global_store_short v[2:3], v1, off
.LBB20_407:
	s_mov_b64 s[6:7], 0
.LBB20_408:
	s_andn2_b64 vcc, exec, s[6:7]
	s_cbranch_vccnz .LBB20_424
; %bb.409:
	s_cmp_lt_i32 s8, 2
	s_mov_b64 s[6:7], -1
	s_cbranch_scc1 .LBB20_419
; %bb.410:
	s_cmp_lt_i32 s8, 3
	s_cbranch_scc1 .LBB20_416
; %bb.411:
	s_cmp_gt_i32 s8, 3
	s_cbranch_scc0 .LBB20_413
; %bb.412:
	v_trunc_f32_e32 v1, v0
	s_mov_b32 s6, 0x2f800000
	v_mul_f32_e64 v4, |v1|, s6
	v_floor_f32_e32 v4, v4
	s_mov_b32 s6, 0xcf800000
	v_cvt_u32_f32_e32 v5, v4
	v_fma_f32 v4, v4, s6, |v1|
	v_cvt_u32_f32_e32 v4, v4
	v_ashrrev_i32_e32 v1, 31, v1
	v_xor_b32_e32 v5, v5, v1
	s_mov_b64 s[6:7], 0
	v_xor_b32_e32 v4, v4, v1
	v_sub_co_u32_e32 v4, vcc, v4, v1
	v_subb_co_u32_e32 v5, vcc, v5, v1, vcc
	global_store_dwordx2 v[2:3], v[4:5], off
.LBB20_413:
	s_andn2_b64 vcc, exec, s[6:7]
	s_cbranch_vccnz .LBB20_415
; %bb.414:
	v_cvt_i32_f32_e32 v1, v0
	global_store_dword v[2:3], v1, off
.LBB20_415:
	s_mov_b64 s[6:7], 0
.LBB20_416:
	s_andn2_b64 vcc, exec, s[6:7]
	s_cbranch_vccnz .LBB20_418
; %bb.417:
	v_cvt_i32_f32_e32 v1, v0
	global_store_short v[2:3], v1, off
.LBB20_418:
	s_mov_b64 s[6:7], 0
.LBB20_419:
	s_andn2_b64 vcc, exec, s[6:7]
	s_cbranch_vccnz .LBB20_424
; %bb.420:
	s_cmp_gt_i32 s8, 0
	s_mov_b64 s[6:7], -1
	s_cbranch_scc0 .LBB20_422
; %bb.421:
	v_cvt_i32_f32_e32 v1, v0
	s_mov_b64 s[6:7], 0
	global_store_byte v[2:3], v1, off
.LBB20_422:
	s_andn2_b64 vcc, exec, s[6:7]
	s_cbranch_vccnz .LBB20_424
; %bb.423:
	v_trunc_f32_e32 v0, v0
	s_mov_b32 s6, 0x2f800000
	v_mul_f32_e64 v1, |v0|, s6
	v_floor_f32_e32 v1, v1
	s_mov_b32 s6, 0xcf800000
	v_fma_f32 v1, v1, s6, |v0|
	v_cvt_u32_f32_e32 v1, v1
	v_ashrrev_i32_e32 v0, 31, v0
	v_xor_b32_e32 v1, v1, v0
	v_sub_u32_e32 v0, v1, v0
	global_store_byte v[2:3], v0, off
.LBB20_424:
	s_mov_b64 s[6:7], -1
.LBB20_425:
	s_andn2_b64 vcc, exec, s[6:7]
	s_cbranch_vccnz .LBB20_427
; %bb.426:
	v_add_u32_e32 v23, 0x80, v23
	s_mov_b64 s[6:7], -1
	s_branch .LBB20_428
.LBB20_427:
	s_mov_b64 s[6:7], 0
                                        ; implicit-def: $vgpr23
.LBB20_428:
	s_andn2_b64 s[8:9], s[66:67], exec
	s_and_b64 s[4:5], s[4:5], exec
	s_or_b64 s[72:73], s[8:9], s[4:5]
	s_orn2_b64 s[6:7], s[6:7], exec
.LBB20_429:
	s_or_b64 exec, exec, s[70:71]
	s_mov_b64 s[4:5], 0
	s_mov_b64 s[10:11], 0
                                        ; implicit-def: $sgpr14
                                        ; implicit-def: $vgpr2_vgpr3
                                        ; implicit-def: $vgpr0
	s_and_saveexec_b64 s[70:71], s[6:7]
	s_cbranch_execz .LBB20_524
; %bb.430:
	v_cmp_gt_i32_e32 vcc, s74, v23
	s_mov_b64 s[6:7], 0
	s_mov_b64 s[8:9], s[72:73]
                                        ; implicit-def: $sgpr14
                                        ; implicit-def: $vgpr2_vgpr3
                                        ; implicit-def: $vgpr0
	s_and_saveexec_b64 s[74:75], vcc
	s_cbranch_execz .LBB20_523
; %bb.431:
	s_andn2_b64 vcc, exec, s[50:51]
	s_cbranch_vccnz .LBB20_436
; %bb.432:
	s_andn2_b64 vcc, exec, s[60:61]
	s_cbranch_vccnz .LBB20_437
; %bb.433:
	s_add_i32 s78, s78, 1
	s_cmp_eq_u32 s76, 2
	s_cbranch_scc1 .LBB20_438
; %bb.434:
	s_and_b32 s26, s78, 28
	v_mov_b32_e32 v2, 0
	s_mov_b32 s27, 0
	s_mov_b64 s[24:25], s[34:35]
	v_mov_b32_e32 v21, 0
	v_mov_b32_e32 v0, v23
.LBB20_435:                             ; =>This Inner Loop Header: Depth=1
	s_load_dwordx8 s[12:19], s[24:25], 0x4
	s_load_dwordx4 s[20:23], s[24:25], 0x24
	s_load_dwordx8 s[4:11], s[58:59], 0x0
	s_add_u32 s24, s24, 48
	s_addc_u32 s25, s25, 0
	s_waitcnt lgkmcnt(0)
	v_mul_hi_u32 v1, s13, v0
	s_add_i32 s27, s27, 4
	s_add_u32 s58, s58, 32
	s_addc_u32 s59, s59, 0
	v_add_u32_e32 v1, v0, v1
	v_lshrrev_b32_e32 v1, s14, v1
	v_mul_lo_u32 v3, v1, s12
	v_mul_hi_u32 v4, s16, v1
	s_cmp_eq_u32 s26, s27
	v_sub_u32_e32 v0, v0, v3
	v_add_u32_e32 v3, v1, v4
	v_mul_lo_u32 v4, v0, s4
	v_mul_lo_u32 v5, v0, s5
	v_lshrrev_b32_e32 v0, s17, v3
	v_mul_lo_u32 v3, v0, s15
	v_mul_hi_u32 v6, s19, v0
	v_sub_u32_e32 v1, v1, v3
	v_add_u32_e32 v3, v0, v6
	v_lshrrev_b32_e32 v3, s20, v3
	v_mul_hi_u32 v7, s22, v3
	v_mul_lo_u32 v8, v3, s18
	v_mul_lo_u32 v6, v1, s6
	;; [unrolled: 1-line block ×3, first 2 shown]
	v_sub_u32_e32 v8, v0, v8
	v_add_u32_e32 v0, v3, v7
	v_lshrrev_b32_e32 v0, s23, v0
	v_mul_lo_u32 v7, v0, s21
	v_mul_lo_u32 v9, v8, s8
	;; [unrolled: 1-line block ×3, first 2 shown]
	v_add3_u32 v4, v4, v21, v6
	v_sub_u32_e32 v3, v3, v7
	v_mul_lo_u32 v7, v3, s10
	v_mul_lo_u32 v3, v3, s11
	v_add3_u32 v1, v5, v2, v1
	v_add3_u32 v21, v9, v4, v7
	;; [unrolled: 1-line block ×3, first 2 shown]
	s_cbranch_scc0 .LBB20_435
	s_branch .LBB20_439
.LBB20_436:
	s_mov_b64 s[4:5], -1
                                        ; implicit-def: $vgpr21
                                        ; implicit-def: $vgpr2
	s_branch .LBB20_443
.LBB20_437:
	v_mov_b32_e32 v21, 0
	v_mov_b32_e32 v2, 0
	s_branch .LBB20_442
.LBB20_438:
	s_mov_b32 s26, 0
	v_mov_b32_e32 v21, 0
	v_mov_b32_e32 v2, 0
	v_mov_b32_e32 v0, v23
.LBB20_439:
	s_and_b32 s8, s78, 3
	s_cmp_eq_u32 s8, 0
	s_cbranch_scc1 .LBB20_442
; %bb.440:
	s_lshl_b32 s4, s26, 3
	s_add_u32 s4, s34, s4
	s_addc_u32 s5, s35, 0
	s_add_u32 s4, s4, 0xc4
	s_addc_u32 s5, s5, 0
	s_mul_i32 s6, s26, 12
	s_add_u32 s6, s34, s6
	s_addc_u32 s7, s35, 0
.LBB20_441:                             ; =>This Inner Loop Header: Depth=1
	s_load_dwordx2 s[10:11], s[6:7], 0x4
	s_load_dword s9, s[6:7], 0xc
	s_load_dwordx2 s[12:13], s[4:5], 0x0
	s_add_u32 s6, s6, 12
	s_addc_u32 s7, s7, 0
	s_waitcnt lgkmcnt(0)
	v_mul_hi_u32 v1, s11, v0
	s_add_u32 s4, s4, 8
	s_addc_u32 s5, s5, 0
	s_add_i32 s8, s8, -1
	v_add_u32_e32 v1, v0, v1
	v_lshrrev_b32_e32 v1, s9, v1
	v_mul_lo_u32 v3, v1, s10
	s_cmp_lg_u32 s8, 0
	v_sub_u32_e32 v0, v0, v3
	v_mad_u64_u32 v[21:22], s[10:11], v0, s12, v[21:22]
	v_mad_u64_u32 v[2:3], s[10:11], v0, s13, v[2:3]
	v_mov_b32_e32 v0, v1
	s_cbranch_scc1 .LBB20_441
.LBB20_442:
	s_mov_b64 s[4:5], 0
.LBB20_443:
	s_andn2_b64 vcc, exec, s[4:5]
	s_cbranch_vccnz .LBB20_446
; %bb.444:
	s_waitcnt lgkmcnt(0)
	v_mul_hi_u32 v0, s45, v23
	s_andn2_b64 vcc, exec, s[56:57]
	v_add_u32_e32 v0, v23, v0
	v_lshrrev_b32_e32 v0, s46, v0
	v_mul_lo_u32 v1, v0, s44
	v_sub_u32_e32 v1, v23, v1
	v_mul_lo_u32 v21, v1, s40
	v_mul_lo_u32 v2, v1, s41
	s_cbranch_vccnz .LBB20_446
; %bb.445:
	v_mul_hi_u32 v1, s54, v0
	v_add_u32_e32 v1, v0, v1
	v_lshrrev_b32_e32 v1, s55, v1
	v_mul_lo_u32 v1, v1, s47
	v_sub_u32_e32 v0, v0, v1
	v_mad_u64_u32 v[21:22], s[4:5], v0, s42, v[21:22]
	v_mad_u64_u32 v[2:3], s[4:5], v0, s43, v[2:3]
.LBB20_446:
	s_getpc_b64 s[4:5]
	s_add_u32 s4, s4, _ZN2at6native6invokeIZZZNS0_12_GLOBAL__N_121bessel_j1_kernel_cudaERNS_18TensorIteratorBaseEENKUlvE_clEvENKUlvE0_clEvEUlfE_j15function_traitsIS7_EEENT1_11result_typeERKT_PrKPcPKT0_PKN3c1010ScalarTypeEi@rel32@lo+4
	s_addc_u32 s5, s5, _ZN2at6native6invokeIZZZNS0_12_GLOBAL__N_121bessel_j1_kernel_cudaERNS_18TensorIteratorBaseEENKUlvE_clEvENKUlvE0_clEvEUlfE_j15function_traitsIS7_EEENT1_11result_typeERKT_PrKPcPKT0_PKN3c1010ScalarTypeEi@rel32@hi+12
	s_waitcnt lgkmcnt(0)
	v_mov_b32_e32 v0, s38
	v_mov_b32_e32 v1, s39
	;; [unrolled: 1-line block ×3, first 2 shown]
	s_swappc_b64 s[30:31], s[4:5]
	v_mov_b32_e32 v1, s37
	s_and_b32 s14, s77, 0xff
	v_add_co_u32_e32 v2, vcc, s36, v21
	s_cmp_lt_i32 s14, 11
	v_addc_co_u32_e32 v3, vcc, 0, v1, vcc
	s_cbranch_scc1 .LBB20_463
; %bb.447:
	s_and_b32 s15, 0xffff, s14
	s_mov_b64 s[8:9], -1
	s_cmp_gt_i32 s15, 25
	s_mov_b64 s[4:5], s[72:73]
	s_cbranch_scc0 .LBB20_481
; %bb.448:
	s_mov_b64 s[6:7], -1
	s_cmp_gt_i32 s15, 28
	s_mov_b64 s[4:5], s[72:73]
	s_cbranch_scc0 .LBB20_465
; %bb.449:
	s_cmp_gt_i32 s15, 43
	s_mov_b64 s[4:5], s[72:73]
	s_cbranch_scc0 .LBB20_460
; %bb.450:
	;; [unrolled: 4-line block ×3, first 2 shown]
	s_cmp_eq_u32 s15, 46
	s_mov_b64 s[4:5], -1
	s_cbranch_scc0 .LBB20_453
; %bb.452:
	v_bfe_u32 v1, v0, 16, 1
	s_movk_i32 s4, 0x7fff
	v_add3_u32 v1, v0, v1, s4
	v_cmp_o_f32_e32 vcc, v0, v0
	v_mov_b32_e32 v4, 0x7fc0
	v_cndmask_b32_sdwa v1, v4, v1, vcc dst_sel:DWORD dst_unused:UNUSED_PAD src0_sel:DWORD src1_sel:WORD_1
	global_store_dword v[2:3], v1, off
	s_mov_b64 s[4:5], 0
.LBB20_453:
	s_mov_b64 s[6:7], 0
.LBB20_454:
	s_and_b64 vcc, exec, s[6:7]
	s_cbranch_vccz .LBB20_459
; %bb.455:
	s_cmp_eq_u32 s15, 44
	s_mov_b64 s[4:5], -1
	s_cbranch_scc0 .LBB20_459
; %bb.456:
	v_bfe_u32 v1, v0, 23, 8
	s_movk_i32 s4, 0xff
	v_cmp_ne_u32_e32 vcc, s4, v1
	v_mov_b32_e32 v4, 0xff
	s_and_saveexec_b64 s[6:7], vcc
; %bb.457:
	s_mov_b32 s4, 0x3fffff
	v_and_b32_e32 v5, 0x400000, v0
	v_and_or_b32 v1, v0, s4, v1
	v_cmp_ne_u32_e32 vcc, 0, v5
	v_cmp_ne_u32_e64 s[4:5], 0, v1
	s_and_b64 s[4:5], vcc, s[4:5]
	v_lshrrev_b32_e32 v4, 23, v0
	v_cndmask_b32_e64 v1, 0, 1, s[4:5]
	v_add_u32_e32 v4, v4, v1
; %bb.458:
	s_or_b64 exec, exec, s[6:7]
	s_mov_b64 s[4:5], 0
	global_store_byte v[2:3], v4, off
.LBB20_459:
	s_mov_b64 s[6:7], 0
.LBB20_460:
	s_and_b64 vcc, exec, s[6:7]
	s_cbranch_vccz .LBB20_464
; %bb.461:
	s_cmp_eq_u32 s15, 29
	s_mov_b64 s[4:5], -1
	s_cbranch_scc0 .LBB20_464
; %bb.462:
	v_trunc_f32_e32 v1, v0
	v_mul_f32_e32 v4, 0x2f800000, v1
	v_floor_f32_e32 v4, v4
	v_fmac_f32_e32 v1, 0xcf800000, v4
	v_cvt_u32_f32_e32 v5, v4
	v_cvt_u32_f32_e32 v4, v1
	s_mov_b64 s[4:5], 0
	s_mov_b64 s[6:7], 0
	global_store_dwordx2 v[2:3], v[4:5], off
	s_branch .LBB20_465
.LBB20_463:
	s_mov_b64 s[8:9], 0
	s_mov_b64 s[6:7], -1
	s_mov_b64 s[4:5], s[72:73]
	s_branch .LBB20_522
.LBB20_464:
	s_mov_b64 s[6:7], 0
.LBB20_465:
	s_and_b64 vcc, exec, s[6:7]
	s_cbranch_vccz .LBB20_480
; %bb.466:
	s_cmp_lt_i32 s15, 27
	s_mov_b64 s[6:7], -1
	s_cbranch_scc1 .LBB20_472
; %bb.467:
	v_cvt_u32_f32_e32 v1, v0
	s_cmp_gt_i32 s15, 27
	s_cbranch_scc0 .LBB20_469
; %bb.468:
	s_mov_b64 s[6:7], 0
	global_store_dword v[2:3], v1, off
.LBB20_469:
	s_andn2_b64 vcc, exec, s[6:7]
	s_cbranch_vccnz .LBB20_471
; %bb.470:
	global_store_short v[2:3], v1, off
.LBB20_471:
	s_mov_b64 s[6:7], 0
.LBB20_472:
	s_andn2_b64 vcc, exec, s[6:7]
	s_cbranch_vccnz .LBB20_480
; %bb.473:
	v_and_b32_e32 v1, 0x7fffffff, v0
	s_mov_b32 s6, 0x43800000
	v_cmp_gt_u32_e32 vcc, s6, v1
	v_mov_b32_e32 v4, 0x80
	s_and_saveexec_b64 s[6:7], vcc
	s_cbranch_execz .LBB20_479
; %bb.474:
	s_mov_b32 s8, 0x3bffffff
	v_cmp_lt_u32_e32 vcc, s8, v1
	s_mov_b64 s[8:9], 0
                                        ; implicit-def: $vgpr1
	s_and_saveexec_b64 s[10:11], vcc
	s_xor_b64 s[10:11], exec, s[10:11]
	s_cbranch_execz .LBB20_1121
; %bb.475:
	v_bfe_u32 v1, v0, 20, 1
	s_mov_b32 s12, 0x487ffff
	v_add3_u32 v1, v0, v1, s12
	s_mov_b64 s[8:9], exec
	v_lshrrev_b32_e32 v1, 20, v1
	s_andn2_saveexec_b64 s[10:11], s[10:11]
	s_cbranch_execnz .LBB20_1122
.LBB20_476:
	s_or_b64 exec, exec, s[10:11]
	v_mov_b32_e32 v4, 0
	s_and_saveexec_b64 s[10:11], s[8:9]
.LBB20_477:
	v_lshrrev_b32_e32 v4, 24, v0
	s_movk_i32 s8, 0x80
	v_and_or_b32 v4, v4, s8, v1
.LBB20_478:
	s_or_b64 exec, exec, s[10:11]
.LBB20_479:
	s_or_b64 exec, exec, s[6:7]
	global_store_byte v[2:3], v4, off
.LBB20_480:
	s_mov_b64 s[8:9], 0
.LBB20_481:
	s_mov_b64 s[6:7], 0
	s_and_b64 vcc, exec, s[8:9]
	s_cbranch_vccz .LBB20_521
; %bb.482:
	s_cmp_gt_i32 s15, 22
	s_mov_b64 s[8:9], -1
	s_cbranch_scc0 .LBB20_514
; %bb.483:
	s_cmp_lt_i32 s15, 24
	s_cbranch_scc1 .LBB20_503
; %bb.484:
	s_cmp_gt_i32 s15, 24
	s_cbranch_scc0 .LBB20_492
; %bb.485:
	v_and_b32_e32 v1, 0x7fffffff, v0
	s_mov_b32 s8, 0x47800000
	v_cmp_gt_u32_e32 vcc, s8, v1
	v_mov_b32_e32 v4, 0x80
	s_and_saveexec_b64 s[8:9], vcc
	s_cbranch_execz .LBB20_491
; %bb.486:
	s_mov_b32 s10, 0x37ffffff
	v_cmp_lt_u32_e32 vcc, s10, v1
	s_mov_b64 s[10:11], 0
                                        ; implicit-def: $vgpr1
	s_and_saveexec_b64 s[12:13], vcc
	s_xor_b64 s[12:13], exec, s[12:13]
	s_cbranch_execz .LBB20_1125
; %bb.487:
	v_bfe_u32 v1, v0, 21, 1
	s_mov_b32 s16, 0x88fffff
	v_add3_u32 v1, v0, v1, s16
	s_mov_b64 s[10:11], exec
	v_lshrrev_b32_e32 v1, 21, v1
	s_andn2_saveexec_b64 s[12:13], s[12:13]
	s_cbranch_execnz .LBB20_1126
.LBB20_488:
	s_or_b64 exec, exec, s[12:13]
	v_mov_b32_e32 v4, 0
	s_and_saveexec_b64 s[12:13], s[10:11]
.LBB20_489:
	v_lshrrev_b32_e32 v4, 24, v0
	s_movk_i32 s10, 0x80
	v_and_or_b32 v4, v4, s10, v1
.LBB20_490:
	s_or_b64 exec, exec, s[12:13]
.LBB20_491:
	s_or_b64 exec, exec, s[8:9]
	s_mov_b64 s[8:9], 0
	global_store_byte v[2:3], v4, off
.LBB20_492:
	s_and_b64 vcc, exec, s[8:9]
	s_cbranch_vccz .LBB20_502
; %bb.493:
	v_and_b32_e32 v4, 0x7fffffff, v0
	s_mov_b32 s8, 0x43f00000
	v_cmp_gt_u32_e32 vcc, s8, v4
                                        ; implicit-def: $vgpr1
	s_and_saveexec_b64 s[8:9], vcc
	s_xor_b64 s[8:9], exec, s[8:9]
	s_cbranch_execz .LBB20_499
; %bb.494:
	s_mov_b32 s10, 0x3c7fffff
	v_cmp_lt_u32_e32 vcc, s10, v4
                                        ; implicit-def: $vgpr1
	s_and_saveexec_b64 s[10:11], vcc
	s_xor_b64 s[10:11], exec, s[10:11]
; %bb.495:
	v_bfe_u32 v1, v0, 20, 1
	s_mov_b32 s12, 0x407ffff
	v_add3_u32 v1, v0, v1, s12
	v_lshrrev_b32_e32 v4, 20, v1
	v_and_b32_e32 v1, 0xff00000, v1
	s_mov_b32 s12, 0x7f00000
	v_mov_b32_e32 v5, 0x7e
	v_cmp_ne_u32_e32 vcc, s12, v1
	v_cndmask_b32_e32 v1, v5, v4, vcc
; %bb.496:
	s_andn2_saveexec_b64 s[10:11], s[10:11]
; %bb.497:
	s_mov_b32 s12, 0x46800000
	v_add_f32_e64 v1, |v0|, s12
; %bb.498:
	s_or_b64 exec, exec, s[10:11]
                                        ; implicit-def: $vgpr4
.LBB20_499:
	s_andn2_saveexec_b64 s[8:9], s[8:9]
; %bb.500:
	s_mov_b32 s10, 0x7f800000
	v_mov_b32_e32 v1, 0x7e
	v_mov_b32_e32 v5, 0x7f
	v_cmp_lt_u32_e32 vcc, s10, v4
	v_cndmask_b32_e32 v1, v1, v5, vcc
; %bb.501:
	s_or_b64 exec, exec, s[8:9]
	v_lshrrev_b32_e32 v4, 24, v0
	s_movk_i32 s8, 0x80
	v_and_or_b32 v1, v4, s8, v1
	global_store_byte v[2:3], v1, off
.LBB20_502:
	s_mov_b64 s[8:9], 0
.LBB20_503:
	s_andn2_b64 vcc, exec, s[8:9]
	s_cbranch_vccnz .LBB20_513
; %bb.504:
	v_and_b32_e32 v4, 0x7fffffff, v0
	s_mov_b32 s8, 0x47800000
	v_cmp_gt_u32_e32 vcc, s8, v4
                                        ; implicit-def: $vgpr1
	s_and_saveexec_b64 s[8:9], vcc
	s_xor_b64 s[8:9], exec, s[8:9]
	s_cbranch_execz .LBB20_510
; %bb.505:
	s_mov_b32 s10, 0x387fffff
	v_cmp_lt_u32_e32 vcc, s10, v4
                                        ; implicit-def: $vgpr1
	s_and_saveexec_b64 s[10:11], vcc
	s_xor_b64 s[10:11], exec, s[10:11]
; %bb.506:
	v_bfe_u32 v1, v0, 21, 1
	s_mov_b32 s12, 0x80fffff
	v_add3_u32 v1, v0, v1, s12
	v_lshrrev_b32_e32 v1, 21, v1
; %bb.507:
	s_andn2_saveexec_b64 s[10:11], s[10:11]
; %bb.508:
	s_mov_b32 s12, 0x43000000
	v_add_f32_e64 v1, |v0|, s12
; %bb.509:
	s_or_b64 exec, exec, s[10:11]
                                        ; implicit-def: $vgpr4
.LBB20_510:
	s_andn2_saveexec_b64 s[8:9], s[8:9]
; %bb.511:
	s_mov_b32 s10, 0x7f800000
	v_mov_b32_e32 v1, 0x7c
	v_mov_b32_e32 v5, 0x7f
	v_cmp_lt_u32_e32 vcc, s10, v4
	v_cndmask_b32_e32 v1, v1, v5, vcc
; %bb.512:
	s_or_b64 exec, exec, s[8:9]
	v_lshrrev_b32_e32 v4, 24, v0
	s_movk_i32 s8, 0x80
	v_and_or_b32 v1, v4, s8, v1
	global_store_byte v[2:3], v1, off
.LBB20_513:
	s_mov_b64 s[8:9], 0
.LBB20_514:
	s_andn2_b64 vcc, exec, s[8:9]
	s_mov_b64 s[8:9], 0
	s_cbranch_vccnz .LBB20_522
; %bb.515:
	s_cmp_gt_i32 s15, 14
	s_mov_b64 s[10:11], -1
	s_cbranch_scc0 .LBB20_519
; %bb.516:
	s_cmp_eq_u32 s15, 15
	s_mov_b64 s[4:5], -1
	s_cbranch_scc0 .LBB20_518
; %bb.517:
	v_bfe_u32 v1, v0, 16, 1
	s_movk_i32 s4, 0x7fff
	v_add3_u32 v1, v0, v1, s4
	v_cmp_o_f32_e32 vcc, v0, v0
	v_mov_b32_e32 v4, 0x7fc0
	v_cndmask_b32_sdwa v1, v4, v1, vcc dst_sel:DWORD dst_unused:UNUSED_PAD src0_sel:DWORD src1_sel:WORD_1
	global_store_short v[2:3], v1, off
	s_mov_b64 s[4:5], 0
.LBB20_518:
	s_mov_b64 s[10:11], 0
.LBB20_519:
	s_and_b64 vcc, exec, s[10:11]
	s_cbranch_vccz .LBB20_522
; %bb.520:
	s_cmp_lg_u32 s15, 11
	s_cselect_b64 s[10:11], -1, 0
	s_andn2_b64 s[4:5], s[4:5], exec
	s_and_b64 s[10:11], s[10:11], exec
	s_mov_b64 s[8:9], -1
	s_or_b64 s[4:5], s[4:5], s[10:11]
	s_branch .LBB20_522
.LBB20_521:
	s_mov_b64 s[8:9], 0
.LBB20_522:
	s_and_b64 s[10:11], s[6:7], exec
	s_and_b64 s[6:7], s[8:9], exec
	s_andn2_b64 s[8:9], s[72:73], exec
	s_and_b64 s[4:5], s[4:5], exec
	s_or_b64 s[8:9], s[8:9], s[4:5]
.LBB20_523:
	s_or_b64 exec, exec, s[74:75]
	s_and_b64 s[4:5], s[6:7], exec
	s_andn2_b64 s[6:7], s[72:73], exec
	s_and_b64 s[8:9], s[8:9], exec
	s_and_b64 s[10:11], s[10:11], exec
	s_or_b64 s[72:73], s[6:7], s[8:9]
.LBB20_524:
	s_or_b64 exec, exec, s[70:71]
	s_and_b64 s[6:7], s[10:11], exec
	s_andn2_b64 s[8:9], s[66:67], exec
	s_and_b64 s[10:11], s[72:73], exec
	s_and_b64 s[4:5], s[4:5], exec
	s_or_b64 s[66:67], s[8:9], s[10:11]
.LBB20_525:
	s_or_b64 exec, exec, s[68:69]
	s_and_b64 s[68:69], s[4:5], exec
	s_andn2_b64 s[4:5], s[62:63], exec
	s_and_b64 s[8:9], s[66:67], exec
	s_and_b64 s[6:7], s[6:7], exec
	s_or_b64 s[62:63], s[4:5], s[8:9]
	s_or_b64 exec, exec, s[64:65]
	s_mov_b64 s[4:5], 0
	s_and_saveexec_b64 s[8:9], s[62:63]
	s_cbranch_execz .LBB20_146
.LBB20_526:
	s_mov_b64 s[4:5], exec
	s_andn2_b64 s[68:69], s[68:69], exec
	s_trap 2
	s_or_b64 exec, exec, s[8:9]
	s_and_saveexec_b64 s[8:9], s[68:69]
	s_xor_b64 s[8:9], exec, s[8:9]
	s_cbranch_execnz .LBB20_147
.LBB20_527:
	s_or_b64 exec, exec, s[8:9]
	s_and_saveexec_b64 s[8:9], s[6:7]
	s_xor_b64 s[6:7], exec, s[8:9]
	s_cbranch_execz .LBB20_565
.LBB20_528:
	s_sext_i32_i16 s10, s14
	s_cmp_lt_i32 s10, 5
	s_mov_b64 s[8:9], -1
	s_cbranch_scc1 .LBB20_549
; %bb.529:
	s_cmp_lt_i32 s10, 8
	s_cbranch_scc1 .LBB20_539
; %bb.530:
	s_cmp_lt_i32 s10, 9
	s_cbranch_scc1 .LBB20_536
; %bb.531:
	s_cmp_gt_i32 s10, 9
	s_cbranch_scc0 .LBB20_533
; %bb.532:
	v_cvt_f64_f32_e32 v[4:5], v0
	v_mov_b32_e32 v6, 0
	v_mov_b32_e32 v7, v6
	s_mov_b64 s[8:9], 0
	global_store_dwordx4 v[2:3], v[4:7], off
.LBB20_533:
	s_andn2_b64 vcc, exec, s[8:9]
	s_cbranch_vccnz .LBB20_535
; %bb.534:
	v_mov_b32_e32 v1, 0
	global_store_dwordx2 v[2:3], v[0:1], off
.LBB20_535:
	s_mov_b64 s[8:9], 0
.LBB20_536:
	s_andn2_b64 vcc, exec, s[8:9]
	s_cbranch_vccnz .LBB20_538
; %bb.537:
	v_cvt_f16_f32_e32 v1, v0
	global_store_dword v[2:3], v1, off
.LBB20_538:
	s_mov_b64 s[8:9], 0
.LBB20_539:
	s_andn2_b64 vcc, exec, s[8:9]
	s_cbranch_vccnz .LBB20_548
; %bb.540:
	s_sext_i32_i16 s10, s14
	s_cmp_lt_i32 s10, 6
	s_mov_b64 s[8:9], -1
	s_cbranch_scc1 .LBB20_546
; %bb.541:
	s_cmp_gt_i32 s10, 6
	s_cbranch_scc0 .LBB20_543
; %bb.542:
	v_cvt_f64_f32_e32 v[4:5], v0
	s_mov_b64 s[8:9], 0
	global_store_dwordx2 v[2:3], v[4:5], off
.LBB20_543:
	s_andn2_b64 vcc, exec, s[8:9]
	s_cbranch_vccnz .LBB20_545
; %bb.544:
	global_store_dword v[2:3], v0, off
.LBB20_545:
	s_mov_b64 s[8:9], 0
.LBB20_546:
	s_andn2_b64 vcc, exec, s[8:9]
	s_cbranch_vccnz .LBB20_548
; %bb.547:
	v_cvt_f16_f32_e32 v1, v0
	global_store_short v[2:3], v1, off
.LBB20_548:
	s_mov_b64 s[8:9], 0
.LBB20_549:
	s_andn2_b64 vcc, exec, s[8:9]
	s_cbranch_vccnz .LBB20_565
; %bb.550:
	s_sext_i32_i16 s10, s14
	s_cmp_lt_i32 s10, 2
	s_mov_b64 s[8:9], -1
	s_cbranch_scc1 .LBB20_560
; %bb.551:
	s_cmp_lt_i32 s10, 3
	s_cbranch_scc1 .LBB20_557
; %bb.552:
	s_cmp_gt_i32 s10, 3
	s_cbranch_scc0 .LBB20_554
; %bb.553:
	v_trunc_f32_e32 v1, v0
	s_mov_b32 s8, 0x2f800000
	v_mul_f32_e64 v4, |v1|, s8
	v_floor_f32_e32 v4, v4
	s_mov_b32 s8, 0xcf800000
	v_cvt_u32_f32_e32 v5, v4
	v_fma_f32 v4, v4, s8, |v1|
	v_cvt_u32_f32_e32 v4, v4
	v_ashrrev_i32_e32 v1, 31, v1
	v_xor_b32_e32 v5, v5, v1
	s_mov_b64 s[8:9], 0
	v_xor_b32_e32 v4, v4, v1
	v_sub_co_u32_e32 v4, vcc, v4, v1
	v_subb_co_u32_e32 v5, vcc, v5, v1, vcc
	global_store_dwordx2 v[2:3], v[4:5], off
.LBB20_554:
	s_andn2_b64 vcc, exec, s[8:9]
	s_cbranch_vccnz .LBB20_556
; %bb.555:
	v_cvt_i32_f32_e32 v1, v0
	global_store_dword v[2:3], v1, off
.LBB20_556:
	s_mov_b64 s[8:9], 0
.LBB20_557:
	s_andn2_b64 vcc, exec, s[8:9]
	s_cbranch_vccnz .LBB20_559
; %bb.558:
	v_cvt_i32_f32_e32 v1, v0
	global_store_short v[2:3], v1, off
.LBB20_559:
	s_mov_b64 s[8:9], 0
.LBB20_560:
	s_andn2_b64 vcc, exec, s[8:9]
	s_cbranch_vccnz .LBB20_565
; %bb.561:
	s_sext_i32_i16 s8, s14
	s_cmp_gt_i32 s8, 0
	s_mov_b64 s[8:9], -1
	s_cbranch_scc0 .LBB20_563
; %bb.562:
	v_cvt_i32_f32_e32 v1, v0
	s_mov_b64 s[8:9], 0
	global_store_byte v[2:3], v1, off
.LBB20_563:
	s_andn2_b64 vcc, exec, s[8:9]
	s_cbranch_vccnz .LBB20_565
; %bb.564:
	v_trunc_f32_e32 v0, v0
	s_mov_b32 s8, 0x2f800000
	v_mul_f32_e64 v1, |v0|, s8
	v_floor_f32_e32 v1, v1
	s_mov_b32 s8, 0xcf800000
	v_fma_f32 v1, v1, s8, |v0|
	v_cvt_u32_f32_e32 v1, v1
	v_ashrrev_i32_e32 v0, 31, v0
	v_xor_b32_e32 v1, v1, v0
	v_sub_u32_e32 v0, v1, v0
	global_store_byte v[2:3], v0, off
.LBB20_565:
	s_or_b64 exec, exec, s[6:7]
	s_waitcnt lgkmcnt(0)
	s_and_b64 s[40:41], s[4:5], exec
                                        ; implicit-def: $vgpr1
                                        ; implicit-def: $vgpr23
.LBB20_566:
	s_or_saveexec_b64 s[42:43], s[52:53]
	s_mov_b64 s[4:5], 0
                                        ; implicit-def: $sgpr16
                                        ; implicit-def: $vgpr2_vgpr3
                                        ; implicit-def: $vgpr0
	s_xor_b64 exec, exec, s[42:43]
	s_cbranch_execz .LBB20_1055
; %bb.567:
	v_cndmask_b32_e64 v0, 0, 1, s[50:51]
	v_cmp_ne_u32_e64 s[4:5], 1, v0
	s_andn2_b64 vcc, exec, s[50:51]
	s_cbranch_vccnz .LBB20_573
; %bb.568:
	s_cmp_lg_u32 s33, 0
	s_mov_b32 s36, 0
	s_cbranch_scc0 .LBB20_574
; %bb.569:
	s_min_u32 s37, s76, 15
	s_add_i32 s37, s37, 1
	s_cmp_eq_u32 s76, 2
	s_cbranch_scc1 .LBB20_575
; %bb.570:
	s_and_b32 s36, s37, 28
	s_add_u32 s6, s34, 0xc4
	s_addc_u32 s7, s35, 0
	v_mov_b32_e32 v2, 0
	s_mov_b32 s38, 0
	s_mov_b64 s[30:31], s[34:35]
	v_mov_b32_e32 v32, 0
	v_mov_b32_e32 v0, v23
.LBB20_571:                             ; =>This Inner Loop Header: Depth=1
	s_load_dwordx8 s[16:23], s[30:31], 0x4
	s_load_dwordx4 s[24:27], s[30:31], 0x24
	s_load_dwordx8 s[8:15], s[6:7], 0x0
	s_add_u32 s30, s30, 48
	s_addc_u32 s31, s31, 0
	s_waitcnt lgkmcnt(0)
	v_mul_hi_u32 v3, s17, v0
	s_add_i32 s38, s38, 4
	s_add_u32 s6, s6, 32
	s_addc_u32 s7, s7, 0
	v_add_u32_e32 v3, v0, v3
	v_lshrrev_b32_e32 v3, s18, v3
	v_mul_lo_u32 v4, v3, s16
	v_mul_hi_u32 v5, s20, v3
	s_cmp_lg_u32 s36, s38
	v_sub_u32_e32 v0, v0, v4
	v_add_u32_e32 v4, v3, v5
	v_mul_lo_u32 v5, v0, s8
	v_mul_lo_u32 v6, v0, s9
	v_lshrrev_b32_e32 v0, s21, v4
	v_mul_lo_u32 v4, v0, s19
	v_mul_hi_u32 v7, s23, v0
	v_sub_u32_e32 v3, v3, v4
	v_add_u32_e32 v4, v0, v7
	v_lshrrev_b32_e32 v4, s24, v4
	v_mul_hi_u32 v8, s26, v4
	v_mul_lo_u32 v9, v4, s22
	v_mul_lo_u32 v7, v3, s10
	;; [unrolled: 1-line block ×3, first 2 shown]
	v_sub_u32_e32 v9, v0, v9
	v_add_u32_e32 v0, v4, v8
	v_lshrrev_b32_e32 v0, s27, v0
	v_mul_lo_u32 v8, v0, s25
	v_mul_lo_u32 v10, v9, s12
	v_mul_lo_u32 v9, v9, s13
	v_add3_u32 v5, v5, v32, v7
	v_sub_u32_e32 v4, v4, v8
	v_mul_lo_u32 v8, v4, s14
	v_mul_lo_u32 v4, v4, s15
	v_add3_u32 v2, v6, v2, v3
	v_add3_u32 v32, v10, v5, v8
	;; [unrolled: 1-line block ×3, first 2 shown]
	s_cbranch_scc1 .LBB20_571
; %bb.572:
	s_and_b32 s10, s37, 3
	s_cmp_eq_u32 s10, 0
	s_cbranch_scc0 .LBB20_576
	s_branch .LBB20_578
.LBB20_573:
                                        ; implicit-def: $vgpr32
                                        ; implicit-def: $vgpr2
	s_branch .LBB20_579
.LBB20_574:
	v_mov_b32_e32 v32, 0
	v_mov_b32_e32 v2, 0
	s_branch .LBB20_578
.LBB20_575:
	v_mov_b32_e32 v32, 0
	v_mov_b32_e32 v2, 0
	;; [unrolled: 1-line block ×3, first 2 shown]
	s_and_b32 s10, s37, 3
	s_cmp_eq_u32 s10, 0
	s_cbranch_scc1 .LBB20_578
.LBB20_576:
	s_lshl_b32 s6, s36, 3
	s_add_u32 s6, s34, s6
	s_addc_u32 s7, s35, 0
	s_add_u32 s6, s6, 0xc4
	s_addc_u32 s7, s7, 0
	s_mul_i32 s8, s36, 12
	s_add_u32 s8, s34, s8
	s_addc_u32 s9, s35, 0
.LBB20_577:                             ; =>This Inner Loop Header: Depth=1
	s_load_dwordx2 s[12:13], s[8:9], 0x4
	s_load_dword s11, s[8:9], 0xc
	s_load_dwordx2 s[14:15], s[6:7], 0x0
	s_add_u32 s8, s8, 12
	s_addc_u32 s9, s9, 0
	s_waitcnt lgkmcnt(0)
	v_mul_hi_u32 v3, s13, v0
	s_add_u32 s6, s6, 8
	s_addc_u32 s7, s7, 0
	s_add_i32 s10, s10, -1
	v_add_u32_e32 v3, v0, v3
	v_lshrrev_b32_e32 v4, s11, v3
	v_mul_lo_u32 v3, v4, s12
	s_cmp_lg_u32 s10, 0
	v_sub_u32_e32 v0, v0, v3
	v_mad_u64_u32 v[32:33], s[12:13], v0, s14, v[32:33]
	v_mad_u64_u32 v[2:3], s[12:13], v0, s15, v[2:3]
	v_mov_b32_e32 v0, v4
	s_cbranch_scc1 .LBB20_577
.LBB20_578:
	s_cbranch_execnz .LBB20_581
.LBB20_579:
	s_load_dwordx4 s[8:11], s[34:35], 0x4
	s_load_dwordx2 s[6:7], s[34:35], 0xc4
	s_cmp_lt_u32 s33, 2
	s_waitcnt lgkmcnt(0)
	v_mul_hi_u32 v0, s9, v23
	v_add_u32_e32 v0, v23, v0
	v_lshrrev_b32_e32 v0, s10, v0
	v_mul_lo_u32 v2, v0, s8
	v_sub_u32_e32 v2, v23, v2
	v_mul_lo_u32 v32, v2, s6
	v_mul_lo_u32 v2, v2, s7
	s_cbranch_scc1 .LBB20_581
; %bb.580:
	s_load_dwordx4 s[8:11], s[34:35], 0x10
	s_load_dwordx2 s[6:7], s[34:35], 0xcc
	s_waitcnt lgkmcnt(0)
	v_mul_hi_u32 v3, s9, v0
	v_add_u32_e32 v3, v0, v3
	v_lshrrev_b32_e32 v3, s10, v3
	v_mul_lo_u32 v3, v3, s8
	v_sub_u32_e32 v0, v0, v3
	v_mad_u64_u32 v[32:33], s[8:9], v0, s6, v[32:33]
	v_mad_u64_u32 v[2:3], s[6:7], v0, s7, v[2:3]
.LBB20_581:
	s_and_b64 vcc, exec, s[4:5]
	v_add_u32_e32 v0, 0x80, v23
	s_cbranch_vccnz .LBB20_587
; %bb.582:
	s_cmp_lg_u32 s33, 0
	s_mov_b32 s36, 0
	s_cbranch_scc0 .LBB20_588
; %bb.583:
	s_min_u32 s37, s76, 15
	s_add_i32 s37, s37, 1
	s_cmp_eq_u32 s76, 2
	s_cbranch_scc1 .LBB20_589
; %bb.584:
	s_and_b32 s36, s37, 28
	s_add_u32 s6, s34, 0xc4
	s_addc_u32 s7, s35, 0
	v_mov_b32_e32 v20, 0
	s_mov_b32 s38, 0
	s_mov_b64 s[30:31], s[34:35]
	v_mov_b32_e32 v30, 0
	v_mov_b32_e32 v3, v0
.LBB20_585:                             ; =>This Inner Loop Header: Depth=1
	s_load_dwordx8 s[16:23], s[30:31], 0x4
	s_load_dwordx4 s[24:27], s[30:31], 0x24
	s_load_dwordx8 s[8:15], s[6:7], 0x0
	s_add_u32 s30, s30, 48
	s_addc_u32 s31, s31, 0
	s_waitcnt lgkmcnt(0)
	v_mul_hi_u32 v4, s17, v3
	s_add_i32 s38, s38, 4
	s_add_u32 s6, s6, 32
	s_addc_u32 s7, s7, 0
	v_add_u32_e32 v4, v3, v4
	v_lshrrev_b32_e32 v4, s18, v4
	v_mul_lo_u32 v5, v4, s16
	v_mul_hi_u32 v6, s20, v4
	s_cmp_lg_u32 s36, s38
	v_sub_u32_e32 v3, v3, v5
	v_add_u32_e32 v5, v4, v6
	v_mul_lo_u32 v6, v3, s8
	v_mul_lo_u32 v7, v3, s9
	v_lshrrev_b32_e32 v3, s21, v5
	v_mul_lo_u32 v5, v3, s19
	v_mul_hi_u32 v8, s23, v3
	v_sub_u32_e32 v4, v4, v5
	v_add_u32_e32 v5, v3, v8
	v_lshrrev_b32_e32 v5, s24, v5
	v_mul_hi_u32 v9, s26, v5
	v_mul_lo_u32 v10, v5, s22
	v_mul_lo_u32 v8, v4, s10
	;; [unrolled: 1-line block ×3, first 2 shown]
	v_sub_u32_e32 v10, v3, v10
	v_add_u32_e32 v3, v5, v9
	v_lshrrev_b32_e32 v3, s27, v3
	v_mul_lo_u32 v9, v3, s25
	v_mul_lo_u32 v11, v10, s12
	;; [unrolled: 1-line block ×3, first 2 shown]
	v_add3_u32 v6, v6, v30, v8
	v_sub_u32_e32 v5, v5, v9
	v_mul_lo_u32 v9, v5, s14
	v_mul_lo_u32 v5, v5, s15
	v_add3_u32 v4, v7, v20, v4
	v_add3_u32 v30, v11, v6, v9
	;; [unrolled: 1-line block ×3, first 2 shown]
	s_cbranch_scc1 .LBB20_585
; %bb.586:
	s_and_b32 s10, s37, 3
	s_cmp_eq_u32 s10, 0
	s_cbranch_scc0 .LBB20_590
	s_branch .LBB20_592
.LBB20_587:
                                        ; implicit-def: $vgpr30
                                        ; implicit-def: $vgpr20
	s_branch .LBB20_593
.LBB20_588:
	v_mov_b32_e32 v30, 0
	v_mov_b32_e32 v20, 0
	s_branch .LBB20_592
.LBB20_589:
	v_mov_b32_e32 v30, 0
	v_mov_b32_e32 v20, 0
	;; [unrolled: 1-line block ×3, first 2 shown]
	s_and_b32 s10, s37, 3
	s_cmp_eq_u32 s10, 0
	s_cbranch_scc1 .LBB20_592
.LBB20_590:
	s_lshl_b32 s6, s36, 3
	s_add_u32 s6, s34, s6
	s_addc_u32 s7, s35, 0
	s_add_u32 s6, s6, 0xc4
	s_addc_u32 s7, s7, 0
	s_mul_i32 s8, s36, 12
	s_add_u32 s8, s34, s8
	s_addc_u32 s9, s35, 0
.LBB20_591:                             ; =>This Inner Loop Header: Depth=1
	s_load_dwordx2 s[12:13], s[8:9], 0x4
	s_load_dword s11, s[8:9], 0xc
	s_load_dwordx2 s[14:15], s[6:7], 0x0
	s_add_u32 s8, s8, 12
	s_addc_u32 s9, s9, 0
	s_waitcnt lgkmcnt(0)
	v_mul_hi_u32 v4, s13, v3
	s_add_u32 s6, s6, 8
	s_addc_u32 s7, s7, 0
	s_add_i32 s10, s10, -1
	v_add_u32_e32 v4, v3, v4
	v_lshrrev_b32_e32 v4, s11, v4
	v_mul_lo_u32 v5, v4, s12
	s_cmp_lg_u32 s10, 0
	v_sub_u32_e32 v3, v3, v5
	v_mad_u64_u32 v[30:31], s[12:13], v3, s14, v[30:31]
	v_mad_u64_u32 v[20:21], s[12:13], v3, s15, v[20:21]
	v_mov_b32_e32 v3, v4
	s_cbranch_scc1 .LBB20_591
.LBB20_592:
	s_cbranch_execnz .LBB20_595
.LBB20_593:
	s_load_dwordx4 s[8:11], s[34:35], 0x4
	s_load_dwordx2 s[6:7], s[34:35], 0xc4
	s_cmp_lt_u32 s33, 2
	s_waitcnt lgkmcnt(0)
	v_mul_hi_u32 v3, s9, v0
	v_add_u32_e32 v3, v0, v3
	v_lshrrev_b32_e32 v3, s10, v3
	v_mul_lo_u32 v4, v3, s8
	v_sub_u32_e32 v0, v0, v4
	v_mul_lo_u32 v30, v0, s6
	v_mul_lo_u32 v20, v0, s7
	s_cbranch_scc1 .LBB20_595
; %bb.594:
	s_load_dwordx4 s[8:11], s[34:35], 0x10
	s_load_dwordx2 s[6:7], s[34:35], 0xcc
	s_waitcnt lgkmcnt(0)
	v_mul_hi_u32 v0, s9, v3
	v_add_u32_e32 v0, v3, v0
	v_lshrrev_b32_e32 v0, s10, v0
	v_mul_lo_u32 v0, v0, s8
	v_sub_u32_e32 v0, v3, v0
	v_mad_u64_u32 v[30:31], s[8:9], v0, s6, v[30:31]
	v_mad_u64_u32 v[20:21], s[6:7], v0, s7, v[20:21]
.LBB20_595:
	s_and_b64 vcc, exec, s[4:5]
	v_add_u32_e32 v0, 0x100, v23
	s_cbranch_vccnz .LBB20_601
; %bb.596:
	s_cmp_lg_u32 s33, 0
	s_mov_b32 s36, 0
	s_cbranch_scc0 .LBB20_602
; %bb.597:
	s_min_u32 s37, s76, 15
	s_add_i32 s37, s37, 1
	s_cmp_eq_u32 s76, 2
	s_cbranch_scc1 .LBB20_603
; %bb.598:
	s_and_b32 s36, s37, 28
	s_add_u32 s6, s34, 0xc4
	s_addc_u32 s7, s35, 0
	v_mov_b32_e32 v23, 0
	s_mov_b32 s38, 0
	s_mov_b64 s[30:31], s[34:35]
	v_mov_b32_e32 v28, 0
	v_mov_b32_e32 v3, v0
.LBB20_599:                             ; =>This Inner Loop Header: Depth=1
	s_load_dwordx8 s[16:23], s[30:31], 0x4
	s_load_dwordx4 s[24:27], s[30:31], 0x24
	s_load_dwordx8 s[8:15], s[6:7], 0x0
	s_add_u32 s30, s30, 48
	s_addc_u32 s31, s31, 0
	s_waitcnt lgkmcnt(0)
	v_mul_hi_u32 v4, s17, v3
	s_add_i32 s38, s38, 4
	s_add_u32 s6, s6, 32
	s_addc_u32 s7, s7, 0
	v_add_u32_e32 v4, v3, v4
	v_lshrrev_b32_e32 v4, s18, v4
	v_mul_lo_u32 v5, v4, s16
	v_mul_hi_u32 v6, s20, v4
	s_cmp_lg_u32 s36, s38
	v_sub_u32_e32 v3, v3, v5
	v_add_u32_e32 v5, v4, v6
	v_mul_lo_u32 v6, v3, s8
	v_mul_lo_u32 v7, v3, s9
	v_lshrrev_b32_e32 v3, s21, v5
	v_mul_lo_u32 v5, v3, s19
	v_mul_hi_u32 v8, s23, v3
	v_sub_u32_e32 v4, v4, v5
	v_add_u32_e32 v5, v3, v8
	v_lshrrev_b32_e32 v5, s24, v5
	v_mul_hi_u32 v9, s26, v5
	v_mul_lo_u32 v10, v5, s22
	v_mul_lo_u32 v8, v4, s10
	;; [unrolled: 1-line block ×3, first 2 shown]
	v_sub_u32_e32 v10, v3, v10
	v_add_u32_e32 v3, v5, v9
	v_lshrrev_b32_e32 v3, s27, v3
	v_mul_lo_u32 v9, v3, s25
	v_mul_lo_u32 v11, v10, s12
	;; [unrolled: 1-line block ×3, first 2 shown]
	v_add3_u32 v6, v6, v28, v8
	v_sub_u32_e32 v5, v5, v9
	v_mul_lo_u32 v9, v5, s14
	v_mul_lo_u32 v5, v5, s15
	v_add3_u32 v4, v7, v23, v4
	v_add3_u32 v28, v11, v6, v9
	;; [unrolled: 1-line block ×3, first 2 shown]
	s_cbranch_scc1 .LBB20_599
; %bb.600:
	s_and_b32 s10, s37, 3
	s_cmp_eq_u32 s10, 0
	s_cbranch_scc0 .LBB20_604
	s_branch .LBB20_606
.LBB20_601:
                                        ; implicit-def: $vgpr28
                                        ; implicit-def: $vgpr23
	s_branch .LBB20_607
.LBB20_602:
	v_mov_b32_e32 v28, 0
	v_mov_b32_e32 v23, 0
	s_branch .LBB20_606
.LBB20_603:
	v_mov_b32_e32 v28, 0
	v_mov_b32_e32 v23, 0
	;; [unrolled: 1-line block ×3, first 2 shown]
	s_and_b32 s10, s37, 3
	s_cmp_eq_u32 s10, 0
	s_cbranch_scc1 .LBB20_606
.LBB20_604:
	s_lshl_b32 s6, s36, 3
	s_add_u32 s6, s34, s6
	s_addc_u32 s7, s35, 0
	s_add_u32 s6, s6, 0xc4
	s_addc_u32 s7, s7, 0
	s_mul_i32 s8, s36, 12
	s_add_u32 s8, s34, s8
	s_addc_u32 s9, s35, 0
.LBB20_605:                             ; =>This Inner Loop Header: Depth=1
	s_load_dwordx2 s[12:13], s[8:9], 0x4
	s_load_dword s11, s[8:9], 0xc
	s_load_dwordx2 s[14:15], s[6:7], 0x0
	s_add_u32 s8, s8, 12
	s_addc_u32 s9, s9, 0
	s_waitcnt lgkmcnt(0)
	v_mul_hi_u32 v4, s13, v3
	s_add_u32 s6, s6, 8
	s_addc_u32 s7, s7, 0
	s_add_i32 s10, s10, -1
	v_add_u32_e32 v4, v3, v4
	v_lshrrev_b32_e32 v4, s11, v4
	v_mul_lo_u32 v5, v4, s12
	s_cmp_lg_u32 s10, 0
	v_sub_u32_e32 v3, v3, v5
	v_mad_u64_u32 v[28:29], s[12:13], v3, s14, v[28:29]
	v_mad_u64_u32 v[23:24], s[12:13], v3, s15, v[23:24]
	v_mov_b32_e32 v3, v4
	s_cbranch_scc1 .LBB20_605
.LBB20_606:
	s_cbranch_execnz .LBB20_609
.LBB20_607:
	s_load_dwordx4 s[8:11], s[34:35], 0x4
	s_load_dwordx2 s[6:7], s[34:35], 0xc4
	s_cmp_lt_u32 s33, 2
	s_waitcnt lgkmcnt(0)
	v_mul_hi_u32 v3, s9, v0
	v_add_u32_e32 v3, v0, v3
	v_lshrrev_b32_e32 v3, s10, v3
	v_mul_lo_u32 v4, v3, s8
	v_sub_u32_e32 v0, v0, v4
	v_mul_lo_u32 v28, v0, s6
	v_mul_lo_u32 v23, v0, s7
	s_cbranch_scc1 .LBB20_609
; %bb.608:
	s_load_dwordx4 s[8:11], s[34:35], 0x10
	s_load_dwordx2 s[6:7], s[34:35], 0xcc
	s_waitcnt lgkmcnt(0)
	v_mul_hi_u32 v0, s9, v3
	v_add_u32_e32 v0, v3, v0
	v_lshrrev_b32_e32 v0, s10, v0
	v_mul_lo_u32 v0, v0, s8
	v_sub_u32_e32 v0, v3, v0
	v_mad_u64_u32 v[28:29], s[8:9], v0, s6, v[28:29]
	v_mad_u64_u32 v[23:24], s[6:7], v0, s7, v[23:24]
.LBB20_609:
	s_and_b64 vcc, exec, s[4:5]
	s_cbranch_vccnz .LBB20_615
; %bb.610:
	s_cmp_lg_u32 s33, 0
	s_mov_b32 s30, 0
	s_cbranch_scc0 .LBB20_616
; %bb.611:
	s_min_u32 s31, s76, 15
	s_add_i32 s31, s31, 1
	s_cmp_eq_u32 s76, 2
	s_cbranch_scc1 .LBB20_617
; %bb.612:
	s_and_b32 s30, s31, 28
	s_add_u32 s24, s34, 0xc4
	s_addc_u32 s25, s35, 0
	v_mov_b32_e32 v24, 0
	s_mov_b32 s36, 0
	s_mov_b64 s[26:27], s[34:35]
	v_mov_b32_e32 v26, 0
	v_mov_b32_e32 v0, v1
.LBB20_613:                             ; =>This Inner Loop Header: Depth=1
	s_load_dwordx8 s[12:19], s[26:27], 0x4
	s_load_dwordx4 s[20:23], s[26:27], 0x24
	s_load_dwordx8 s[4:11], s[24:25], 0x0
	s_add_u32 s26, s26, 48
	s_addc_u32 s27, s27, 0
	s_waitcnt lgkmcnt(0)
	v_mul_hi_u32 v3, s13, v0
	s_add_i32 s36, s36, 4
	s_add_u32 s24, s24, 32
	s_addc_u32 s25, s25, 0
	v_add_u32_e32 v3, v0, v3
	v_lshrrev_b32_e32 v3, s14, v3
	v_mul_lo_u32 v4, v3, s12
	v_mul_hi_u32 v5, s16, v3
	s_cmp_lg_u32 s30, s36
	v_sub_u32_e32 v0, v0, v4
	v_add_u32_e32 v4, v3, v5
	v_mul_lo_u32 v5, v0, s4
	v_mul_lo_u32 v6, v0, s5
	v_lshrrev_b32_e32 v0, s17, v4
	v_mul_lo_u32 v4, v0, s15
	v_mul_hi_u32 v7, s19, v0
	v_sub_u32_e32 v3, v3, v4
	v_add_u32_e32 v4, v0, v7
	v_lshrrev_b32_e32 v4, s20, v4
	v_mul_hi_u32 v8, s22, v4
	v_mul_lo_u32 v9, v4, s18
	v_mul_lo_u32 v7, v3, s6
	;; [unrolled: 1-line block ×3, first 2 shown]
	v_sub_u32_e32 v9, v0, v9
	v_add_u32_e32 v0, v4, v8
	v_lshrrev_b32_e32 v0, s23, v0
	v_mul_lo_u32 v8, v0, s21
	v_mul_lo_u32 v10, v9, s8
	;; [unrolled: 1-line block ×3, first 2 shown]
	v_add3_u32 v5, v5, v26, v7
	v_sub_u32_e32 v4, v4, v8
	v_mul_lo_u32 v8, v4, s10
	v_mul_lo_u32 v4, v4, s11
	v_add3_u32 v3, v6, v24, v3
	v_add3_u32 v26, v10, v5, v8
	;; [unrolled: 1-line block ×3, first 2 shown]
	s_cbranch_scc1 .LBB20_613
; %bb.614:
	s_and_b32 s8, s31, 3
	s_cmp_eq_u32 s8, 0
	s_cbranch_scc0 .LBB20_618
	s_branch .LBB20_620
.LBB20_615:
                                        ; implicit-def: $vgpr26
                                        ; implicit-def: $vgpr24
	s_branch .LBB20_621
.LBB20_616:
	v_mov_b32_e32 v26, 0
	v_mov_b32_e32 v24, 0
	s_branch .LBB20_620
.LBB20_617:
	v_mov_b32_e32 v26, 0
	v_mov_b32_e32 v24, 0
	;; [unrolled: 1-line block ×3, first 2 shown]
	s_and_b32 s8, s31, 3
	s_cmp_eq_u32 s8, 0
	s_cbranch_scc1 .LBB20_620
.LBB20_618:
	s_lshl_b32 s4, s30, 3
	s_add_u32 s4, s34, s4
	s_addc_u32 s5, s35, 0
	s_add_u32 s4, s4, 0xc4
	s_addc_u32 s5, s5, 0
	s_mul_i32 s6, s30, 12
	s_add_u32 s6, s34, s6
	s_addc_u32 s7, s35, 0
.LBB20_619:                             ; =>This Inner Loop Header: Depth=1
	s_load_dwordx2 s[10:11], s[6:7], 0x4
	s_load_dword s9, s[6:7], 0xc
	s_load_dwordx2 s[12:13], s[4:5], 0x0
	s_add_u32 s6, s6, 12
	s_addc_u32 s7, s7, 0
	s_waitcnt lgkmcnt(0)
	v_mul_hi_u32 v3, s11, v0
	s_add_u32 s4, s4, 8
	s_addc_u32 s5, s5, 0
	s_add_i32 s8, s8, -1
	v_add_u32_e32 v3, v0, v3
	v_lshrrev_b32_e32 v3, s9, v3
	v_mul_lo_u32 v4, v3, s10
	s_cmp_lg_u32 s8, 0
	v_sub_u32_e32 v0, v0, v4
	v_mad_u64_u32 v[26:27], s[10:11], v0, s12, v[26:27]
	v_mad_u64_u32 v[24:25], s[10:11], v0, s13, v[24:25]
	v_mov_b32_e32 v0, v3
	s_cbranch_scc1 .LBB20_619
.LBB20_620:
	s_cbranch_execnz .LBB20_623
.LBB20_621:
	s_load_dwordx4 s[4:7], s[34:35], 0x4
	s_load_dwordx2 s[8:9], s[34:35], 0xc4
	s_cmp_lt_u32 s33, 2
	s_waitcnt lgkmcnt(0)
	v_mul_hi_u32 v0, s5, v1
	v_add_u32_e32 v0, v1, v0
	v_lshrrev_b32_e32 v0, s6, v0
	v_mul_lo_u32 v3, v0, s4
	v_sub_u32_e32 v1, v1, v3
	v_mul_lo_u32 v26, v1, s8
	v_mul_lo_u32 v24, v1, s9
	s_cbranch_scc1 .LBB20_623
; %bb.622:
	s_load_dwordx4 s[4:7], s[34:35], 0x10
	s_load_dwordx2 s[8:9], s[34:35], 0xcc
	s_waitcnt lgkmcnt(0)
	v_mul_hi_u32 v1, s5, v0
	v_add_u32_e32 v1, v0, v1
	v_lshrrev_b32_e32 v1, s6, v1
	v_mul_lo_u32 v1, v1, s4
	v_sub_u32_e32 v0, v0, v1
	v_mad_u64_u32 v[26:27], s[4:5], v0, s8, v[26:27]
	v_mad_u64_u32 v[24:25], s[4:5], v0, s9, v[24:25]
.LBB20_623:
	s_load_dword s33, s[28:29], 0x160
	s_load_dwordx4 s[36:39], s[34:35], 0x148
	s_getpc_b64 s[28:29]
	s_add_u32 s28, s28, _ZN2at6native6invokeIZZZNS0_12_GLOBAL__N_121bessel_j1_kernel_cudaERNS_18TensorIteratorBaseEENKUlvE_clEvENKUlvE0_clEvEUlfE_j15function_traitsIS7_EEENT1_11result_typeERKT_PrKPcPKT0_PKN3c1010ScalarTypeEi@rel32@lo+4
	s_addc_u32 s29, s29, _ZN2at6native6invokeIZZZNS0_12_GLOBAL__N_121bessel_j1_kernel_cudaERNS_18TensorIteratorBaseEENKUlvE_clEvENKUlvE0_clEvEUlfE_j15function_traitsIS7_EEENT1_11result_typeERKT_PrKPcPKT0_PKN3c1010ScalarTypeEi@rel32@hi+12
	s_waitcnt lgkmcnt(0)
	s_lshr_b32 s34, s33, 16
	v_mov_b32_e32 v0, s38
	v_mov_b32_e32 v1, s39
	v_mov_b32_e32 v3, s34
	s_swappc_b64 s[30:31], s[28:29]
	v_mov_b32_e32 v22, v0
	v_mov_b32_e32 v0, s38
	v_mov_b32_e32 v1, s39
	v_mov_b32_e32 v2, v20
	v_mov_b32_e32 v3, s34
	s_swappc_b64 s[30:31], s[28:29]
	v_mov_b32_e32 v21, v0
	v_mov_b32_e32 v0, s38
	;; [unrolled: 6-line block ×3, first 2 shown]
	v_mov_b32_e32 v1, s39
	v_mov_b32_e32 v2, v24
	v_mov_b32_e32 v3, s34
	s_swappc_b64 s[30:31], s[28:29]
	v_mov_b32_e32 v2, s37
	s_bfe_u32 s14, s33, 0x80008
	v_add_co_u32_e32 v1, vcc, s36, v32
	s_cmp_lt_i32 s14, 11
	v_addc_co_u32_e32 v2, vcc, 0, v2, vcc
	s_cbranch_scc1 .LBB20_702
; %bb.624:
	s_and_b32 s15, 0xffff, s14
	s_mov_b64 s[6:7], -1
	s_mov_b64 s[8:9], 0
	s_cmp_gt_i32 s15, 25
	s_mov_b64 s[10:11], 0
	s_mov_b64 s[4:5], 0
	s_cbranch_scc0 .LBB20_657
; %bb.625:
	s_cmp_gt_i32 s15, 28
	s_cbranch_scc0 .LBB20_640
; %bb.626:
	s_cmp_gt_i32 s15, 43
	;; [unrolled: 3-line block ×3, first 2 shown]
	s_cbranch_scc0 .LBB20_630
; %bb.628:
	s_mov_b64 s[4:5], -1
	s_mov_b64 s[6:7], 0
	s_cmp_eq_u32 s15, 46
	s_cbranch_scc0 .LBB20_630
; %bb.629:
	v_bfe_u32 v3, v22, 16, 1
	s_movk_i32 s4, 0x7fff
	v_add3_u32 v3, v22, v3, s4
	v_cmp_o_f32_e32 vcc, v22, v22
	v_mov_b32_e32 v4, 0x7fc0
	v_cndmask_b32_sdwa v3, v4, v3, vcc dst_sel:DWORD dst_unused:UNUSED_PAD src0_sel:DWORD src1_sel:WORD_1
	global_store_dword v[1:2], v3, off
	s_mov_b64 s[4:5], 0
	s_mov_b64 s[10:11], -1
.LBB20_630:
	s_and_b64 vcc, exec, s[6:7]
	s_cbranch_vccz .LBB20_635
; %bb.631:
	s_cmp_eq_u32 s15, 44
	s_mov_b64 s[4:5], -1
	s_cbranch_scc0 .LBB20_635
; %bb.632:
	v_bfe_u32 v3, v22, 23, 8
	s_movk_i32 s4, 0xff
	v_cmp_ne_u32_e32 vcc, s4, v3
	v_mov_b32_e32 v4, 0xff
	s_and_saveexec_b64 s[6:7], vcc
; %bb.633:
	s_mov_b32 s4, 0x3fffff
	v_and_b32_e32 v5, 0x400000, v22
	v_and_or_b32 v3, v22, s4, v3
	v_cmp_ne_u32_e32 vcc, 0, v5
	v_cmp_ne_u32_e64 s[4:5], 0, v3
	s_and_b64 s[4:5], vcc, s[4:5]
	v_lshrrev_b32_e32 v4, 23, v22
	v_cndmask_b32_e64 v3, 0, 1, s[4:5]
	v_add_u32_e32 v4, v4, v3
; %bb.634:
	s_or_b64 exec, exec, s[6:7]
	s_mov_b64 s[4:5], 0
	s_mov_b64 s[10:11], -1
	global_store_byte v[1:2], v4, off
.LBB20_635:
	s_mov_b64 s[6:7], 0
.LBB20_636:
	s_and_b64 vcc, exec, s[6:7]
	s_cbranch_vccz .LBB20_639
; %bb.637:
	s_cmp_eq_u32 s15, 29
	s_mov_b64 s[4:5], -1
	s_cbranch_scc0 .LBB20_639
; %bb.638:
	v_trunc_f32_e32 v3, v22
	v_mul_f32_e32 v4, 0x2f800000, v3
	v_floor_f32_e32 v5, v4
	v_fmac_f32_e32 v3, 0xcf800000, v5
	v_cvt_u32_f32_e32 v4, v5
	v_cvt_u32_f32_e32 v3, v3
	s_mov_b64 s[4:5], 0
	s_mov_b64 s[10:11], -1
	global_store_dwordx2 v[1:2], v[3:4], off
.LBB20_639:
	s_mov_b64 s[6:7], 0
.LBB20_640:
	s_and_b64 vcc, exec, s[6:7]
	s_cbranch_vccz .LBB20_656
; %bb.641:
	s_cmp_lt_i32 s15, 27
	s_mov_b64 s[6:7], -1
	s_cbranch_scc1 .LBB20_647
; %bb.642:
	s_cmp_gt_i32 s15, 27
	s_cbranch_scc0 .LBB20_644
; %bb.643:
	v_cvt_u32_f32_e32 v3, v22
	s_mov_b64 s[6:7], 0
	global_store_dword v[1:2], v3, off
.LBB20_644:
	s_andn2_b64 vcc, exec, s[6:7]
	s_cbranch_vccnz .LBB20_646
; %bb.645:
	v_cvt_u32_f32_e32 v3, v22
	global_store_short v[1:2], v3, off
.LBB20_646:
	s_mov_b64 s[6:7], 0
.LBB20_647:
	s_andn2_b64 vcc, exec, s[6:7]
	s_cbranch_vccnz .LBB20_655
; %bb.648:
	v_and_b32_e32 v3, 0x7fffffff, v22
	s_mov_b32 s6, 0x43800000
	v_cmp_gt_u32_e32 vcc, s6, v3
	v_mov_b32_e32 v4, 0x80
	s_and_saveexec_b64 s[6:7], vcc
	s_cbranch_execz .LBB20_654
; %bb.649:
	s_mov_b32 s10, 0x3bffffff
	v_cmp_lt_u32_e32 vcc, s10, v3
	s_mov_b64 s[10:11], 0
                                        ; implicit-def: $vgpr3
	s_and_saveexec_b64 s[12:13], vcc
	s_xor_b64 s[12:13], exec, s[12:13]
	s_cbranch_execz .LBB20_1099
; %bb.650:
	v_bfe_u32 v3, v22, 20, 1
	s_mov_b32 s16, 0x487ffff
	v_add3_u32 v3, v22, v3, s16
	s_mov_b64 s[10:11], exec
	v_lshrrev_b32_e32 v3, 20, v3
	s_andn2_saveexec_b64 s[12:13], s[12:13]
	s_cbranch_execnz .LBB20_1100
.LBB20_651:
	s_or_b64 exec, exec, s[12:13]
	v_mov_b32_e32 v4, 0
	s_and_saveexec_b64 s[12:13], s[10:11]
.LBB20_652:
	v_lshrrev_b32_e32 v4, 24, v22
	s_movk_i32 s10, 0x80
	v_and_or_b32 v4, v4, s10, v3
.LBB20_653:
	s_or_b64 exec, exec, s[12:13]
.LBB20_654:
	s_or_b64 exec, exec, s[6:7]
	global_store_byte v[1:2], v4, off
.LBB20_655:
	s_mov_b64 s[10:11], -1
.LBB20_656:
	s_mov_b64 s[6:7], 0
.LBB20_657:
	s_and_b64 vcc, exec, s[6:7]
	s_cbranch_vccz .LBB20_697
; %bb.658:
	s_cmp_gt_i32 s15, 22
	s_mov_b64 s[6:7], -1
	s_cbranch_scc0 .LBB20_690
; %bb.659:
	s_cmp_lt_i32 s15, 24
	s_cbranch_scc1 .LBB20_679
; %bb.660:
	s_cmp_gt_i32 s15, 24
	s_cbranch_scc0 .LBB20_668
; %bb.661:
	v_and_b32_e32 v3, 0x7fffffff, v22
	s_mov_b32 s6, 0x47800000
	v_cmp_gt_u32_e32 vcc, s6, v3
	v_mov_b32_e32 v4, 0x80
	s_and_saveexec_b64 s[6:7], vcc
	s_cbranch_execz .LBB20_667
; %bb.662:
	s_mov_b32 s8, 0x37ffffff
	v_cmp_lt_u32_e32 vcc, s8, v3
	s_mov_b64 s[8:9], 0
                                        ; implicit-def: $vgpr3
	s_and_saveexec_b64 s[10:11], vcc
	s_xor_b64 s[10:11], exec, s[10:11]
	s_cbranch_execz .LBB20_1102
; %bb.663:
	v_bfe_u32 v3, v22, 21, 1
	s_mov_b32 s12, 0x88fffff
	v_add3_u32 v3, v22, v3, s12
	s_mov_b64 s[8:9], exec
	v_lshrrev_b32_e32 v3, 21, v3
	s_andn2_saveexec_b64 s[10:11], s[10:11]
	s_cbranch_execnz .LBB20_1103
.LBB20_664:
	s_or_b64 exec, exec, s[10:11]
	v_mov_b32_e32 v4, 0
	s_and_saveexec_b64 s[10:11], s[8:9]
.LBB20_665:
	v_lshrrev_b32_e32 v4, 24, v22
	s_movk_i32 s8, 0x80
	v_and_or_b32 v4, v4, s8, v3
.LBB20_666:
	s_or_b64 exec, exec, s[10:11]
.LBB20_667:
	s_or_b64 exec, exec, s[6:7]
	s_mov_b64 s[6:7], 0
	global_store_byte v[1:2], v4, off
.LBB20_668:
	s_and_b64 vcc, exec, s[6:7]
	s_cbranch_vccz .LBB20_678
; %bb.669:
	v_and_b32_e32 v4, 0x7fffffff, v22
	s_mov_b32 s6, 0x43f00000
	v_cmp_gt_u32_e32 vcc, s6, v4
                                        ; implicit-def: $vgpr3
	s_and_saveexec_b64 s[6:7], vcc
	s_xor_b64 s[6:7], exec, s[6:7]
	s_cbranch_execz .LBB20_675
; %bb.670:
	s_mov_b32 s8, 0x3c7fffff
	v_cmp_lt_u32_e32 vcc, s8, v4
                                        ; implicit-def: $vgpr3
	s_and_saveexec_b64 s[8:9], vcc
	s_xor_b64 s[8:9], exec, s[8:9]
; %bb.671:
	v_bfe_u32 v3, v22, 20, 1
	s_mov_b32 s10, 0x407ffff
	v_add3_u32 v3, v22, v3, s10
	v_lshrrev_b32_e32 v4, 20, v3
	v_and_b32_e32 v3, 0xff00000, v3
	s_mov_b32 s10, 0x7f00000
	v_mov_b32_e32 v5, 0x7e
	v_cmp_ne_u32_e32 vcc, s10, v3
	v_cndmask_b32_e32 v3, v5, v4, vcc
; %bb.672:
	s_andn2_saveexec_b64 s[8:9], s[8:9]
; %bb.673:
	s_mov_b32 s10, 0x46800000
	v_add_f32_e64 v3, |v22|, s10
; %bb.674:
	s_or_b64 exec, exec, s[8:9]
                                        ; implicit-def: $vgpr4
.LBB20_675:
	s_andn2_saveexec_b64 s[6:7], s[6:7]
; %bb.676:
	s_mov_b32 s8, 0x7f800000
	v_mov_b32_e32 v3, 0x7e
	v_mov_b32_e32 v5, 0x7f
	v_cmp_lt_u32_e32 vcc, s8, v4
	v_cndmask_b32_e32 v3, v3, v5, vcc
; %bb.677:
	s_or_b64 exec, exec, s[6:7]
	v_lshrrev_b32_e32 v4, 24, v22
	s_movk_i32 s6, 0x80
	v_and_or_b32 v3, v4, s6, v3
	global_store_byte v[1:2], v3, off
.LBB20_678:
	s_mov_b64 s[6:7], 0
.LBB20_679:
	s_andn2_b64 vcc, exec, s[6:7]
	s_cbranch_vccnz .LBB20_689
; %bb.680:
	v_and_b32_e32 v4, 0x7fffffff, v22
	s_mov_b32 s6, 0x47800000
	v_cmp_gt_u32_e32 vcc, s6, v4
                                        ; implicit-def: $vgpr3
	s_and_saveexec_b64 s[6:7], vcc
	s_xor_b64 s[6:7], exec, s[6:7]
	s_cbranch_execz .LBB20_686
; %bb.681:
	s_mov_b32 s8, 0x387fffff
	v_cmp_lt_u32_e32 vcc, s8, v4
                                        ; implicit-def: $vgpr3
	s_and_saveexec_b64 s[8:9], vcc
	s_xor_b64 s[8:9], exec, s[8:9]
; %bb.682:
	v_bfe_u32 v3, v22, 21, 1
	s_mov_b32 s10, 0x80fffff
	v_add3_u32 v3, v22, v3, s10
	v_lshrrev_b32_e32 v3, 21, v3
; %bb.683:
	s_andn2_saveexec_b64 s[8:9], s[8:9]
; %bb.684:
	s_mov_b32 s10, 0x43000000
	v_add_f32_e64 v3, |v22|, s10
; %bb.685:
	s_or_b64 exec, exec, s[8:9]
                                        ; implicit-def: $vgpr4
.LBB20_686:
	s_andn2_saveexec_b64 s[6:7], s[6:7]
; %bb.687:
	s_mov_b32 s8, 0x7f800000
	v_mov_b32_e32 v3, 0x7c
	v_mov_b32_e32 v5, 0x7f
	v_cmp_lt_u32_e32 vcc, s8, v4
	v_cndmask_b32_e32 v3, v3, v5, vcc
; %bb.688:
	s_or_b64 exec, exec, s[6:7]
	v_lshrrev_b32_e32 v4, 24, v22
	s_movk_i32 s6, 0x80
	v_and_or_b32 v3, v4, s6, v3
	global_store_byte v[1:2], v3, off
.LBB20_689:
	s_mov_b64 s[6:7], 0
	s_mov_b64 s[10:11], -1
.LBB20_690:
	s_andn2_b64 vcc, exec, s[6:7]
	s_mov_b64 s[8:9], 0
	s_cbranch_vccnz .LBB20_697
; %bb.691:
	s_cmp_gt_i32 s15, 14
	s_mov_b64 s[6:7], -1
	s_cbranch_scc0 .LBB20_695
; %bb.692:
	s_cmp_eq_u32 s15, 15
	s_mov_b64 s[4:5], -1
	s_cbranch_scc0 .LBB20_694
; %bb.693:
	v_bfe_u32 v3, v22, 16, 1
	s_movk_i32 s4, 0x7fff
	v_add3_u32 v3, v22, v3, s4
	v_cmp_o_f32_e32 vcc, v22, v22
	v_mov_b32_e32 v4, 0x7fc0
	v_cndmask_b32_sdwa v3, v4, v3, vcc dst_sel:DWORD dst_unused:UNUSED_PAD src0_sel:DWORD src1_sel:WORD_1
	global_store_short v[1:2], v3, off
	s_mov_b64 s[4:5], 0
	s_mov_b64 s[10:11], -1
.LBB20_694:
	s_mov_b64 s[6:7], 0
.LBB20_695:
	s_and_b64 vcc, exec, s[6:7]
	s_cbranch_vccz .LBB20_697
; %bb.696:
	s_cmp_lg_u32 s15, 11
	s_mov_b64 s[8:9], -1
	s_cselect_b64 s[4:5], -1, 0
.LBB20_697:
	s_and_b64 vcc, exec, s[4:5]
	s_mov_b64 s[6:7], s[40:41]
	s_cbranch_vccnz .LBB20_1101
; %bb.698:
	s_andn2_b64 vcc, exec, s[8:9]
	s_cbranch_vccnz .LBB20_700
.LBB20_699:
	v_cmp_neq_f32_e32 vcc, 0, v22
	v_cndmask_b32_e64 v3, 0, 1, vcc
	global_store_byte v[1:2], v3, off
	s_mov_b64 s[10:11], -1
.LBB20_700:
.LBB20_701:
	s_andn2_b64 vcc, exec, s[10:11]
	s_cbranch_vccz .LBB20_741
	s_branch .LBB20_1053
.LBB20_702:
	s_mov_b64 s[10:11], 0
	s_mov_b64 s[6:7], s[40:41]
	s_cbranch_execz .LBB20_701
; %bb.703:
	s_and_b32 s8, 0xffff, s14
	s_cmp_lt_i32 s8, 5
	s_mov_b64 s[4:5], -1
	s_cbranch_scc1 .LBB20_724
; %bb.704:
	s_cmp_lt_i32 s8, 8
	s_cbranch_scc1 .LBB20_714
; %bb.705:
	s_cmp_lt_i32 s8, 9
	s_cbranch_scc1 .LBB20_711
; %bb.706:
	s_cmp_gt_i32 s8, 9
	s_cbranch_scc0 .LBB20_708
; %bb.707:
	v_cvt_f64_f32_e32 v[3:4], v22
	v_mov_b32_e32 v5, 0
	v_mov_b32_e32 v6, v5
	s_mov_b64 s[4:5], 0
	global_store_dwordx4 v[1:2], v[3:6], off
.LBB20_708:
	s_andn2_b64 vcc, exec, s[4:5]
	s_cbranch_vccnz .LBB20_710
; %bb.709:
	v_mov_b32_e32 v23, 0
	global_store_dwordx2 v[1:2], v[22:23], off
.LBB20_710:
	s_mov_b64 s[4:5], 0
.LBB20_711:
	s_andn2_b64 vcc, exec, s[4:5]
	s_cbranch_vccnz .LBB20_713
; %bb.712:
	v_cvt_f16_f32_e32 v3, v22
	global_store_dword v[1:2], v3, off
.LBB20_713:
	s_mov_b64 s[4:5], 0
.LBB20_714:
	s_andn2_b64 vcc, exec, s[4:5]
	s_cbranch_vccnz .LBB20_723
; %bb.715:
	s_cmp_lt_i32 s8, 6
	s_mov_b64 s[4:5], -1
	s_cbranch_scc1 .LBB20_721
; %bb.716:
	s_cmp_gt_i32 s8, 6
	s_cbranch_scc0 .LBB20_718
; %bb.717:
	v_cvt_f64_f32_e32 v[3:4], v22
	s_mov_b64 s[4:5], 0
	global_store_dwordx2 v[1:2], v[3:4], off
.LBB20_718:
	s_andn2_b64 vcc, exec, s[4:5]
	s_cbranch_vccnz .LBB20_720
; %bb.719:
	global_store_dword v[1:2], v22, off
.LBB20_720:
	s_mov_b64 s[4:5], 0
.LBB20_721:
	s_andn2_b64 vcc, exec, s[4:5]
	s_cbranch_vccnz .LBB20_723
; %bb.722:
	v_cvt_f16_f32_e32 v3, v22
	global_store_short v[1:2], v3, off
.LBB20_723:
	s_mov_b64 s[4:5], 0
.LBB20_724:
	s_andn2_b64 vcc, exec, s[4:5]
	s_cbranch_vccnz .LBB20_740
; %bb.725:
	s_cmp_lt_i32 s8, 2
	s_mov_b64 s[4:5], -1
	s_cbranch_scc1 .LBB20_735
; %bb.726:
	s_cmp_lt_i32 s8, 3
	s_cbranch_scc1 .LBB20_732
; %bb.727:
	s_cmp_gt_i32 s8, 3
	s_cbranch_scc0 .LBB20_729
; %bb.728:
	v_trunc_f32_e32 v3, v22
	s_mov_b32 s4, 0x2f800000
	v_mul_f32_e64 v4, |v3|, s4
	v_floor_f32_e32 v4, v4
	s_mov_b32 s4, 0xcf800000
	v_cvt_u32_f32_e32 v5, v4
	v_fma_f32 v4, v4, s4, |v3|
	v_cvt_u32_f32_e32 v4, v4
	v_ashrrev_i32_e32 v6, 31, v3
	v_xor_b32_e32 v5, v5, v6
	s_mov_b64 s[4:5], 0
	v_xor_b32_e32 v3, v4, v6
	v_sub_co_u32_e32 v3, vcc, v3, v6
	v_subb_co_u32_e32 v4, vcc, v5, v6, vcc
	global_store_dwordx2 v[1:2], v[3:4], off
.LBB20_729:
	s_andn2_b64 vcc, exec, s[4:5]
	s_cbranch_vccnz .LBB20_731
; %bb.730:
	v_cvt_i32_f32_e32 v3, v22
	global_store_dword v[1:2], v3, off
.LBB20_731:
	s_mov_b64 s[4:5], 0
.LBB20_732:
	s_andn2_b64 vcc, exec, s[4:5]
	s_cbranch_vccnz .LBB20_734
; %bb.733:
	v_cvt_i32_f32_e32 v3, v22
	global_store_short v[1:2], v3, off
.LBB20_734:
	s_mov_b64 s[4:5], 0
.LBB20_735:
	s_andn2_b64 vcc, exec, s[4:5]
	s_cbranch_vccnz .LBB20_740
; %bb.736:
	s_cmp_gt_i32 s8, 0
	s_mov_b64 s[4:5], -1
	s_cbranch_scc0 .LBB20_738
; %bb.737:
	v_cvt_i32_f32_e32 v3, v22
	s_mov_b64 s[4:5], 0
	global_store_byte v[1:2], v3, off
.LBB20_738:
	s_andn2_b64 vcc, exec, s[4:5]
	s_cbranch_vccnz .LBB20_740
; %bb.739:
	v_trunc_f32_e32 v3, v22
	s_mov_b32 s4, 0x2f800000
	v_mul_f32_e64 v4, |v3|, s4
	v_floor_f32_e32 v4, v4
	s_mov_b32 s4, 0xcf800000
	v_fma_f32 v4, v4, s4, |v3|
	v_cvt_u32_f32_e32 v4, v4
	v_ashrrev_i32_e32 v3, 31, v3
	v_xor_b32_e32 v4, v4, v3
	v_sub_u32_e32 v3, v4, v3
	global_store_byte v[1:2], v3, off
.LBB20_740:
.LBB20_741:
	s_lshr_b32 s4, s33, 8
	v_mov_b32_e32 v2, s37
	s_and_b32 s16, s4, 0xff
	v_add_co_u32_e32 v1, vcc, s36, v30
	s_cmp_lt_i32 s16, 11
	v_addc_co_u32_e32 v2, vcc, 0, v2, vcc
	s_cbranch_scc1 .LBB20_820
; %bb.742:
	s_and_b32 s17, 0xffff, s16
	s_mov_b64 s[12:13], -1
	s_mov_b64 s[8:9], 0
	s_cmp_gt_i32 s17, 25
	s_mov_b64 s[10:11], 0
	s_mov_b64 s[4:5], 0
	s_cbranch_scc0 .LBB20_775
; %bb.743:
	s_cmp_gt_i32 s17, 28
	s_cbranch_scc0 .LBB20_758
; %bb.744:
	s_cmp_gt_i32 s17, 43
	;; [unrolled: 3-line block ×3, first 2 shown]
	s_cbranch_scc0 .LBB20_748
; %bb.746:
	s_mov_b64 s[4:5], -1
	s_mov_b64 s[12:13], 0
	s_cmp_eq_u32 s17, 46
	s_cbranch_scc0 .LBB20_748
; %bb.747:
	v_bfe_u32 v3, v21, 16, 1
	s_movk_i32 s4, 0x7fff
	v_add3_u32 v3, v21, v3, s4
	v_cmp_o_f32_e32 vcc, v21, v21
	v_mov_b32_e32 v4, 0x7fc0
	v_cndmask_b32_sdwa v3, v4, v3, vcc dst_sel:DWORD dst_unused:UNUSED_PAD src0_sel:DWORD src1_sel:WORD_1
	global_store_dword v[1:2], v3, off
	s_mov_b64 s[4:5], 0
	s_mov_b64 s[10:11], -1
.LBB20_748:
	s_and_b64 vcc, exec, s[12:13]
	s_cbranch_vccz .LBB20_753
; %bb.749:
	s_cmp_eq_u32 s17, 44
	s_mov_b64 s[4:5], -1
	s_cbranch_scc0 .LBB20_753
; %bb.750:
	v_bfe_u32 v3, v21, 23, 8
	s_movk_i32 s4, 0xff
	v_cmp_ne_u32_e32 vcc, s4, v3
	v_mov_b32_e32 v4, 0xff
	s_and_saveexec_b64 s[10:11], vcc
; %bb.751:
	s_mov_b32 s4, 0x3fffff
	v_and_b32_e32 v5, 0x400000, v21
	v_and_or_b32 v3, v21, s4, v3
	v_cmp_ne_u32_e32 vcc, 0, v5
	v_cmp_ne_u32_e64 s[4:5], 0, v3
	s_and_b64 s[4:5], vcc, s[4:5]
	v_lshrrev_b32_e32 v4, 23, v21
	v_cndmask_b32_e64 v3, 0, 1, s[4:5]
	v_add_u32_e32 v4, v4, v3
; %bb.752:
	s_or_b64 exec, exec, s[10:11]
	s_mov_b64 s[4:5], 0
	s_mov_b64 s[10:11], -1
	global_store_byte v[1:2], v4, off
.LBB20_753:
	s_mov_b64 s[12:13], 0
.LBB20_754:
	s_and_b64 vcc, exec, s[12:13]
	s_cbranch_vccz .LBB20_757
; %bb.755:
	s_cmp_eq_u32 s17, 29
	s_mov_b64 s[4:5], -1
	s_cbranch_scc0 .LBB20_757
; %bb.756:
	v_trunc_f32_e32 v3, v21
	v_mul_f32_e32 v4, 0x2f800000, v3
	v_floor_f32_e32 v5, v4
	v_fmac_f32_e32 v3, 0xcf800000, v5
	v_cvt_u32_f32_e32 v4, v5
	v_cvt_u32_f32_e32 v3, v3
	s_mov_b64 s[4:5], 0
	s_mov_b64 s[10:11], -1
	global_store_dwordx2 v[1:2], v[3:4], off
.LBB20_757:
	s_mov_b64 s[12:13], 0
.LBB20_758:
	s_and_b64 vcc, exec, s[12:13]
	s_cbranch_vccz .LBB20_774
; %bb.759:
	s_cmp_lt_i32 s17, 27
	s_mov_b64 s[10:11], -1
	s_cbranch_scc1 .LBB20_765
; %bb.760:
	s_cmp_gt_i32 s17, 27
	s_cbranch_scc0 .LBB20_762
; %bb.761:
	v_cvt_u32_f32_e32 v3, v21
	s_mov_b64 s[10:11], 0
	global_store_dword v[1:2], v3, off
.LBB20_762:
	s_andn2_b64 vcc, exec, s[10:11]
	s_cbranch_vccnz .LBB20_764
; %bb.763:
	v_cvt_u32_f32_e32 v3, v21
	global_store_short v[1:2], v3, off
.LBB20_764:
	s_mov_b64 s[10:11], 0
.LBB20_765:
	s_andn2_b64 vcc, exec, s[10:11]
	s_cbranch_vccnz .LBB20_773
; %bb.766:
	v_and_b32_e32 v3, 0x7fffffff, v21
	s_mov_b32 s10, 0x43800000
	v_cmp_gt_u32_e32 vcc, s10, v3
	v_mov_b32_e32 v4, 0x80
	s_and_saveexec_b64 s[10:11], vcc
	s_cbranch_execz .LBB20_772
; %bb.767:
	s_mov_b32 s12, 0x3bffffff
	v_cmp_lt_u32_e32 vcc, s12, v3
	s_mov_b64 s[12:13], 0
                                        ; implicit-def: $vgpr3
	s_and_saveexec_b64 s[14:15], vcc
	s_xor_b64 s[14:15], exec, s[14:15]
	s_cbranch_execz .LBB20_1104
; %bb.768:
	v_bfe_u32 v3, v21, 20, 1
	s_mov_b32 s18, 0x487ffff
	v_add3_u32 v3, v21, v3, s18
	s_mov_b64 s[12:13], exec
	v_lshrrev_b32_e32 v3, 20, v3
	s_andn2_saveexec_b64 s[14:15], s[14:15]
	s_cbranch_execnz .LBB20_1105
.LBB20_769:
	s_or_b64 exec, exec, s[14:15]
	v_mov_b32_e32 v4, 0
	s_and_saveexec_b64 s[14:15], s[12:13]
.LBB20_770:
	v_lshrrev_b32_e32 v4, 24, v21
	s_movk_i32 s12, 0x80
	v_and_or_b32 v4, v4, s12, v3
.LBB20_771:
	s_or_b64 exec, exec, s[14:15]
.LBB20_772:
	s_or_b64 exec, exec, s[10:11]
	global_store_byte v[1:2], v4, off
.LBB20_773:
	s_mov_b64 s[10:11], -1
.LBB20_774:
	s_mov_b64 s[12:13], 0
.LBB20_775:
	s_and_b64 vcc, exec, s[12:13]
	s_cbranch_vccz .LBB20_815
; %bb.776:
	s_cmp_gt_i32 s17, 22
	s_mov_b64 s[8:9], -1
	s_cbranch_scc0 .LBB20_808
; %bb.777:
	s_cmp_lt_i32 s17, 24
	s_cbranch_scc1 .LBB20_797
; %bb.778:
	s_cmp_gt_i32 s17, 24
	s_cbranch_scc0 .LBB20_786
; %bb.779:
	v_and_b32_e32 v3, 0x7fffffff, v21
	s_mov_b32 s8, 0x47800000
	v_cmp_gt_u32_e32 vcc, s8, v3
	v_mov_b32_e32 v4, 0x80
	s_and_saveexec_b64 s[8:9], vcc
	s_cbranch_execz .LBB20_785
; %bb.780:
	s_mov_b32 s10, 0x37ffffff
	v_cmp_lt_u32_e32 vcc, s10, v3
	s_mov_b64 s[10:11], 0
                                        ; implicit-def: $vgpr3
	s_and_saveexec_b64 s[12:13], vcc
	s_xor_b64 s[12:13], exec, s[12:13]
	s_cbranch_execz .LBB20_1107
; %bb.781:
	v_bfe_u32 v3, v21, 21, 1
	s_mov_b32 s14, 0x88fffff
	v_add3_u32 v3, v21, v3, s14
	s_mov_b64 s[10:11], exec
	v_lshrrev_b32_e32 v3, 21, v3
	s_andn2_saveexec_b64 s[12:13], s[12:13]
	s_cbranch_execnz .LBB20_1108
.LBB20_782:
	s_or_b64 exec, exec, s[12:13]
	v_mov_b32_e32 v4, 0
	s_and_saveexec_b64 s[12:13], s[10:11]
.LBB20_783:
	v_lshrrev_b32_e32 v4, 24, v21
	s_movk_i32 s10, 0x80
	v_and_or_b32 v4, v4, s10, v3
.LBB20_784:
	s_or_b64 exec, exec, s[12:13]
.LBB20_785:
	s_or_b64 exec, exec, s[8:9]
	s_mov_b64 s[8:9], 0
	global_store_byte v[1:2], v4, off
.LBB20_786:
	s_and_b64 vcc, exec, s[8:9]
	s_cbranch_vccz .LBB20_796
; %bb.787:
	v_and_b32_e32 v4, 0x7fffffff, v21
	s_mov_b32 s8, 0x43f00000
	v_cmp_gt_u32_e32 vcc, s8, v4
                                        ; implicit-def: $vgpr3
	s_and_saveexec_b64 s[8:9], vcc
	s_xor_b64 s[8:9], exec, s[8:9]
	s_cbranch_execz .LBB20_793
; %bb.788:
	s_mov_b32 s10, 0x3c7fffff
	v_cmp_lt_u32_e32 vcc, s10, v4
                                        ; implicit-def: $vgpr3
	s_and_saveexec_b64 s[10:11], vcc
	s_xor_b64 s[10:11], exec, s[10:11]
; %bb.789:
	v_bfe_u32 v3, v21, 20, 1
	s_mov_b32 s12, 0x407ffff
	v_add3_u32 v3, v21, v3, s12
	v_lshrrev_b32_e32 v4, 20, v3
	v_and_b32_e32 v3, 0xff00000, v3
	s_mov_b32 s12, 0x7f00000
	v_mov_b32_e32 v5, 0x7e
	v_cmp_ne_u32_e32 vcc, s12, v3
	v_cndmask_b32_e32 v3, v5, v4, vcc
; %bb.790:
	s_andn2_saveexec_b64 s[10:11], s[10:11]
; %bb.791:
	s_mov_b32 s12, 0x46800000
	v_add_f32_e64 v3, |v21|, s12
; %bb.792:
	s_or_b64 exec, exec, s[10:11]
                                        ; implicit-def: $vgpr4
.LBB20_793:
	s_andn2_saveexec_b64 s[8:9], s[8:9]
; %bb.794:
	s_mov_b32 s10, 0x7f800000
	v_mov_b32_e32 v3, 0x7e
	v_mov_b32_e32 v5, 0x7f
	v_cmp_lt_u32_e32 vcc, s10, v4
	v_cndmask_b32_e32 v3, v3, v5, vcc
; %bb.795:
	s_or_b64 exec, exec, s[8:9]
	v_lshrrev_b32_e32 v4, 24, v21
	s_movk_i32 s8, 0x80
	v_and_or_b32 v3, v4, s8, v3
	global_store_byte v[1:2], v3, off
.LBB20_796:
	s_mov_b64 s[8:9], 0
.LBB20_797:
	s_andn2_b64 vcc, exec, s[8:9]
	s_cbranch_vccnz .LBB20_807
; %bb.798:
	v_and_b32_e32 v4, 0x7fffffff, v21
	s_mov_b32 s8, 0x47800000
	v_cmp_gt_u32_e32 vcc, s8, v4
                                        ; implicit-def: $vgpr3
	s_and_saveexec_b64 s[8:9], vcc
	s_xor_b64 s[8:9], exec, s[8:9]
	s_cbranch_execz .LBB20_804
; %bb.799:
	s_mov_b32 s10, 0x387fffff
	v_cmp_lt_u32_e32 vcc, s10, v4
                                        ; implicit-def: $vgpr3
	s_and_saveexec_b64 s[10:11], vcc
	s_xor_b64 s[10:11], exec, s[10:11]
; %bb.800:
	v_bfe_u32 v3, v21, 21, 1
	s_mov_b32 s12, 0x80fffff
	v_add3_u32 v3, v21, v3, s12
	v_lshrrev_b32_e32 v3, 21, v3
; %bb.801:
	s_andn2_saveexec_b64 s[10:11], s[10:11]
; %bb.802:
	s_mov_b32 s12, 0x43000000
	v_add_f32_e64 v3, |v21|, s12
; %bb.803:
	s_or_b64 exec, exec, s[10:11]
                                        ; implicit-def: $vgpr4
.LBB20_804:
	s_andn2_saveexec_b64 s[8:9], s[8:9]
; %bb.805:
	s_mov_b32 s10, 0x7f800000
	v_mov_b32_e32 v3, 0x7c
	v_mov_b32_e32 v5, 0x7f
	v_cmp_lt_u32_e32 vcc, s10, v4
	v_cndmask_b32_e32 v3, v3, v5, vcc
; %bb.806:
	s_or_b64 exec, exec, s[8:9]
	v_lshrrev_b32_e32 v4, 24, v21
	s_movk_i32 s8, 0x80
	v_and_or_b32 v3, v4, s8, v3
	global_store_byte v[1:2], v3, off
.LBB20_807:
	s_mov_b64 s[8:9], 0
	s_mov_b64 s[10:11], -1
.LBB20_808:
	s_andn2_b64 vcc, exec, s[8:9]
	s_mov_b64 s[8:9], 0
	s_cbranch_vccnz .LBB20_815
; %bb.809:
	s_cmp_gt_i32 s17, 14
	s_mov_b64 s[12:13], -1
	s_cbranch_scc0 .LBB20_813
; %bb.810:
	s_cmp_eq_u32 s17, 15
	s_mov_b64 s[4:5], -1
	s_cbranch_scc0 .LBB20_812
; %bb.811:
	v_bfe_u32 v3, v21, 16, 1
	s_movk_i32 s4, 0x7fff
	v_add3_u32 v3, v21, v3, s4
	v_cmp_o_f32_e32 vcc, v21, v21
	v_mov_b32_e32 v4, 0x7fc0
	v_cndmask_b32_sdwa v3, v4, v3, vcc dst_sel:DWORD dst_unused:UNUSED_PAD src0_sel:DWORD src1_sel:WORD_1
	global_store_short v[1:2], v3, off
	s_mov_b64 s[4:5], 0
	s_mov_b64 s[10:11], -1
.LBB20_812:
	s_mov_b64 s[12:13], 0
.LBB20_813:
	s_and_b64 vcc, exec, s[12:13]
	s_cbranch_vccz .LBB20_815
; %bb.814:
	s_cmp_lg_u32 s17, 11
	s_mov_b64 s[8:9], -1
	s_cselect_b64 s[4:5], -1, 0
.LBB20_815:
	s_and_b64 vcc, exec, s[4:5]
	s_cbranch_vccnz .LBB20_1106
; %bb.816:
	s_andn2_b64 vcc, exec, s[8:9]
	s_cbranch_vccnz .LBB20_818
.LBB20_817:
	v_cmp_neq_f32_e32 vcc, 0, v21
	v_cndmask_b32_e64 v3, 0, 1, vcc
	s_mov_b64 s[10:11], -1
	global_store_byte v[1:2], v3, off
.LBB20_818:
.LBB20_819:
	s_andn2_b64 vcc, exec, s[10:11]
	s_cbranch_vccz .LBB20_859
	s_branch .LBB20_1053
.LBB20_820:
	s_mov_b64 s[10:11], 0
	s_cbranch_execz .LBB20_819
; %bb.821:
	s_and_b32 s8, 0xffff, s16
	s_cmp_lt_i32 s8, 5
	s_mov_b64 s[4:5], -1
	s_cbranch_scc1 .LBB20_842
; %bb.822:
	s_cmp_lt_i32 s8, 8
	s_cbranch_scc1 .LBB20_832
; %bb.823:
	s_cmp_lt_i32 s8, 9
	s_cbranch_scc1 .LBB20_829
; %bb.824:
	s_cmp_gt_i32 s8, 9
	s_cbranch_scc0 .LBB20_826
; %bb.825:
	v_cvt_f64_f32_e32 v[3:4], v21
	v_mov_b32_e32 v5, 0
	v_mov_b32_e32 v6, v5
	s_mov_b64 s[4:5], 0
	global_store_dwordx4 v[1:2], v[3:6], off
.LBB20_826:
	s_andn2_b64 vcc, exec, s[4:5]
	s_cbranch_vccnz .LBB20_828
; %bb.827:
	v_mov_b32_e32 v22, 0
	global_store_dwordx2 v[1:2], v[21:22], off
.LBB20_828:
	s_mov_b64 s[4:5], 0
.LBB20_829:
	s_andn2_b64 vcc, exec, s[4:5]
	s_cbranch_vccnz .LBB20_831
; %bb.830:
	v_cvt_f16_f32_e32 v3, v21
	global_store_dword v[1:2], v3, off
.LBB20_831:
	s_mov_b64 s[4:5], 0
.LBB20_832:
	s_andn2_b64 vcc, exec, s[4:5]
	s_cbranch_vccnz .LBB20_841
; %bb.833:
	s_cmp_lt_i32 s8, 6
	s_mov_b64 s[4:5], -1
	s_cbranch_scc1 .LBB20_839
; %bb.834:
	s_cmp_gt_i32 s8, 6
	s_cbranch_scc0 .LBB20_836
; %bb.835:
	v_cvt_f64_f32_e32 v[3:4], v21
	s_mov_b64 s[4:5], 0
	global_store_dwordx2 v[1:2], v[3:4], off
.LBB20_836:
	s_andn2_b64 vcc, exec, s[4:5]
	s_cbranch_vccnz .LBB20_838
; %bb.837:
	global_store_dword v[1:2], v21, off
.LBB20_838:
	s_mov_b64 s[4:5], 0
.LBB20_839:
	s_andn2_b64 vcc, exec, s[4:5]
	s_cbranch_vccnz .LBB20_841
; %bb.840:
	v_cvt_f16_f32_e32 v3, v21
	global_store_short v[1:2], v3, off
.LBB20_841:
	s_mov_b64 s[4:5], 0
.LBB20_842:
	s_andn2_b64 vcc, exec, s[4:5]
	s_cbranch_vccnz .LBB20_858
; %bb.843:
	s_cmp_lt_i32 s8, 2
	s_mov_b64 s[4:5], -1
	s_cbranch_scc1 .LBB20_853
; %bb.844:
	s_cmp_lt_i32 s8, 3
	s_cbranch_scc1 .LBB20_850
; %bb.845:
	s_cmp_gt_i32 s8, 3
	s_cbranch_scc0 .LBB20_847
; %bb.846:
	v_trunc_f32_e32 v3, v21
	s_mov_b32 s4, 0x2f800000
	v_mul_f32_e64 v4, |v3|, s4
	v_floor_f32_e32 v4, v4
	s_mov_b32 s4, 0xcf800000
	v_cvt_u32_f32_e32 v5, v4
	v_fma_f32 v4, v4, s4, |v3|
	v_cvt_u32_f32_e32 v4, v4
	v_ashrrev_i32_e32 v6, 31, v3
	v_xor_b32_e32 v5, v5, v6
	s_mov_b64 s[4:5], 0
	v_xor_b32_e32 v3, v4, v6
	v_sub_co_u32_e32 v3, vcc, v3, v6
	v_subb_co_u32_e32 v4, vcc, v5, v6, vcc
	global_store_dwordx2 v[1:2], v[3:4], off
.LBB20_847:
	s_andn2_b64 vcc, exec, s[4:5]
	s_cbranch_vccnz .LBB20_849
; %bb.848:
	v_cvt_i32_f32_e32 v3, v21
	global_store_dword v[1:2], v3, off
.LBB20_849:
	s_mov_b64 s[4:5], 0
.LBB20_850:
	s_andn2_b64 vcc, exec, s[4:5]
	s_cbranch_vccnz .LBB20_852
; %bb.851:
	v_cvt_i32_f32_e32 v3, v21
	global_store_short v[1:2], v3, off
.LBB20_852:
	s_mov_b64 s[4:5], 0
.LBB20_853:
	s_andn2_b64 vcc, exec, s[4:5]
	s_cbranch_vccnz .LBB20_858
; %bb.854:
	s_cmp_gt_i32 s8, 0
	s_mov_b64 s[4:5], -1
	s_cbranch_scc0 .LBB20_856
; %bb.855:
	v_cvt_i32_f32_e32 v3, v21
	s_mov_b64 s[4:5], 0
	global_store_byte v[1:2], v3, off
.LBB20_856:
	s_andn2_b64 vcc, exec, s[4:5]
	s_cbranch_vccnz .LBB20_858
; %bb.857:
	v_trunc_f32_e32 v3, v21
	s_mov_b32 s4, 0x2f800000
	v_mul_f32_e64 v4, |v3|, s4
	v_floor_f32_e32 v4, v4
	s_mov_b32 s4, 0xcf800000
	v_fma_f32 v4, v4, s4, |v3|
	v_cvt_u32_f32_e32 v4, v4
	v_ashrrev_i32_e32 v3, 31, v3
	v_xor_b32_e32 v4, v4, v3
	v_sub_u32_e32 v3, v4, v3
	global_store_byte v[1:2], v3, off
.LBB20_858:
.LBB20_859:
	v_mov_b32_e32 v2, s37
	v_add_co_u32_e32 v1, vcc, s36, v28
	s_cmp_lt_i32 s16, 11
	v_addc_co_u32_e32 v2, vcc, 0, v2, vcc
	s_cbranch_scc1 .LBB20_1014
; %bb.860:
	s_and_b32 s17, 0xffff, s16
	s_mov_b64 s[12:13], -1
	s_mov_b64 s[8:9], 0
	s_cmp_gt_i32 s17, 25
	s_mov_b64 s[10:11], 0
	s_mov_b64 s[4:5], 0
	s_cbranch_scc0 .LBB20_893
; %bb.861:
	s_cmp_gt_i32 s17, 28
	s_cbranch_scc0 .LBB20_876
; %bb.862:
	s_cmp_gt_i32 s17, 43
	;; [unrolled: 3-line block ×3, first 2 shown]
	s_cbranch_scc0 .LBB20_866
; %bb.864:
	s_mov_b64 s[4:5], -1
	s_mov_b64 s[12:13], 0
	s_cmp_eq_u32 s17, 46
	s_cbranch_scc0 .LBB20_866
; %bb.865:
	v_bfe_u32 v3, v20, 16, 1
	s_movk_i32 s4, 0x7fff
	v_add3_u32 v3, v20, v3, s4
	v_cmp_o_f32_e32 vcc, v20, v20
	v_mov_b32_e32 v4, 0x7fc0
	v_cndmask_b32_sdwa v3, v4, v3, vcc dst_sel:DWORD dst_unused:UNUSED_PAD src0_sel:DWORD src1_sel:WORD_1
	global_store_dword v[1:2], v3, off
	s_mov_b64 s[4:5], 0
	s_mov_b64 s[10:11], -1
.LBB20_866:
	s_and_b64 vcc, exec, s[12:13]
	s_cbranch_vccz .LBB20_871
; %bb.867:
	s_cmp_eq_u32 s17, 44
	s_mov_b64 s[4:5], -1
	s_cbranch_scc0 .LBB20_871
; %bb.868:
	v_bfe_u32 v3, v20, 23, 8
	s_movk_i32 s4, 0xff
	v_cmp_ne_u32_e32 vcc, s4, v3
	v_mov_b32_e32 v4, 0xff
	s_and_saveexec_b64 s[10:11], vcc
; %bb.869:
	s_mov_b32 s4, 0x3fffff
	v_and_b32_e32 v5, 0x400000, v20
	v_and_or_b32 v3, v20, s4, v3
	v_cmp_ne_u32_e32 vcc, 0, v5
	v_cmp_ne_u32_e64 s[4:5], 0, v3
	s_and_b64 s[4:5], vcc, s[4:5]
	v_lshrrev_b32_e32 v4, 23, v20
	v_cndmask_b32_e64 v3, 0, 1, s[4:5]
	v_add_u32_e32 v4, v4, v3
; %bb.870:
	s_or_b64 exec, exec, s[10:11]
	s_mov_b64 s[4:5], 0
	s_mov_b64 s[10:11], -1
	global_store_byte v[1:2], v4, off
.LBB20_871:
	s_mov_b64 s[12:13], 0
.LBB20_872:
	s_and_b64 vcc, exec, s[12:13]
	s_cbranch_vccz .LBB20_875
; %bb.873:
	s_cmp_eq_u32 s17, 29
	s_mov_b64 s[4:5], -1
	s_cbranch_scc0 .LBB20_875
; %bb.874:
	v_trunc_f32_e32 v3, v20
	v_mul_f32_e32 v4, 0x2f800000, v3
	v_floor_f32_e32 v5, v4
	v_fmac_f32_e32 v3, 0xcf800000, v5
	v_cvt_u32_f32_e32 v4, v5
	v_cvt_u32_f32_e32 v3, v3
	s_mov_b64 s[4:5], 0
	s_mov_b64 s[10:11], -1
	global_store_dwordx2 v[1:2], v[3:4], off
.LBB20_875:
	s_mov_b64 s[12:13], 0
.LBB20_876:
	s_and_b64 vcc, exec, s[12:13]
	s_cbranch_vccz .LBB20_892
; %bb.877:
	s_cmp_lt_i32 s17, 27
	s_mov_b64 s[10:11], -1
	s_cbranch_scc1 .LBB20_883
; %bb.878:
	v_cvt_u32_f32_e32 v3, v20
	s_cmp_gt_i32 s17, 27
	s_cbranch_scc0 .LBB20_880
; %bb.879:
	s_mov_b64 s[10:11], 0
	global_store_dword v[1:2], v3, off
.LBB20_880:
	s_andn2_b64 vcc, exec, s[10:11]
	s_cbranch_vccnz .LBB20_882
; %bb.881:
	global_store_short v[1:2], v3, off
.LBB20_882:
	s_mov_b64 s[10:11], 0
.LBB20_883:
	s_andn2_b64 vcc, exec, s[10:11]
	s_cbranch_vccnz .LBB20_891
; %bb.884:
	v_and_b32_e32 v3, 0x7fffffff, v20
	s_mov_b32 s10, 0x43800000
	v_cmp_gt_u32_e32 vcc, s10, v3
	v_mov_b32_e32 v4, 0x80
	s_and_saveexec_b64 s[10:11], vcc
	s_cbranch_execz .LBB20_890
; %bb.885:
	s_mov_b32 s12, 0x3bffffff
	v_cmp_lt_u32_e32 vcc, s12, v3
	s_mov_b64 s[12:13], 0
                                        ; implicit-def: $vgpr3
	s_and_saveexec_b64 s[14:15], vcc
	s_xor_b64 s[14:15], exec, s[14:15]
	s_cbranch_execz .LBB20_1109
; %bb.886:
	v_bfe_u32 v3, v20, 20, 1
	s_mov_b32 s18, 0x487ffff
	v_add3_u32 v3, v20, v3, s18
	s_mov_b64 s[12:13], exec
	v_lshrrev_b32_e32 v3, 20, v3
	s_andn2_saveexec_b64 s[14:15], s[14:15]
	s_cbranch_execnz .LBB20_1110
.LBB20_887:
	s_or_b64 exec, exec, s[14:15]
	v_mov_b32_e32 v4, 0
	s_and_saveexec_b64 s[14:15], s[12:13]
.LBB20_888:
	v_lshrrev_b32_e32 v4, 24, v20
	s_movk_i32 s12, 0x80
	v_and_or_b32 v4, v4, s12, v3
.LBB20_889:
	s_or_b64 exec, exec, s[14:15]
.LBB20_890:
	s_or_b64 exec, exec, s[10:11]
	global_store_byte v[1:2], v4, off
.LBB20_891:
	s_mov_b64 s[10:11], -1
.LBB20_892:
	s_mov_b64 s[12:13], 0
.LBB20_893:
	s_and_b64 vcc, exec, s[12:13]
	s_cbranch_vccz .LBB20_933
; %bb.894:
	s_cmp_gt_i32 s17, 22
	s_mov_b64 s[8:9], -1
	s_cbranch_scc0 .LBB20_926
; %bb.895:
	s_cmp_lt_i32 s17, 24
	s_cbranch_scc1 .LBB20_915
; %bb.896:
	s_cmp_gt_i32 s17, 24
	s_cbranch_scc0 .LBB20_904
; %bb.897:
	v_and_b32_e32 v3, 0x7fffffff, v20
	s_mov_b32 s8, 0x47800000
	v_cmp_gt_u32_e32 vcc, s8, v3
	v_mov_b32_e32 v4, 0x80
	s_and_saveexec_b64 s[8:9], vcc
	s_cbranch_execz .LBB20_903
; %bb.898:
	s_mov_b32 s10, 0x37ffffff
	v_cmp_lt_u32_e32 vcc, s10, v3
	s_mov_b64 s[10:11], 0
                                        ; implicit-def: $vgpr3
	s_and_saveexec_b64 s[12:13], vcc
	s_xor_b64 s[12:13], exec, s[12:13]
	s_cbranch_execz .LBB20_1114
; %bb.899:
	v_bfe_u32 v3, v20, 21, 1
	s_mov_b32 s14, 0x88fffff
	v_add3_u32 v3, v20, v3, s14
	s_mov_b64 s[10:11], exec
	v_lshrrev_b32_e32 v3, 21, v3
	s_andn2_saveexec_b64 s[12:13], s[12:13]
	s_cbranch_execnz .LBB20_1115
.LBB20_900:
	s_or_b64 exec, exec, s[12:13]
	v_mov_b32_e32 v4, 0
	s_and_saveexec_b64 s[12:13], s[10:11]
.LBB20_901:
	v_lshrrev_b32_e32 v4, 24, v20
	s_movk_i32 s10, 0x80
	v_and_or_b32 v4, v4, s10, v3
.LBB20_902:
	s_or_b64 exec, exec, s[12:13]
.LBB20_903:
	s_or_b64 exec, exec, s[8:9]
	s_mov_b64 s[8:9], 0
	global_store_byte v[1:2], v4, off
.LBB20_904:
	s_and_b64 vcc, exec, s[8:9]
	s_cbranch_vccz .LBB20_914
; %bb.905:
	v_and_b32_e32 v4, 0x7fffffff, v20
	s_mov_b32 s8, 0x43f00000
	v_cmp_gt_u32_e32 vcc, s8, v4
                                        ; implicit-def: $vgpr3
	s_and_saveexec_b64 s[8:9], vcc
	s_xor_b64 s[8:9], exec, s[8:9]
	s_cbranch_execz .LBB20_911
; %bb.906:
	s_mov_b32 s10, 0x3c7fffff
	v_cmp_lt_u32_e32 vcc, s10, v4
                                        ; implicit-def: $vgpr3
	s_and_saveexec_b64 s[10:11], vcc
	s_xor_b64 s[10:11], exec, s[10:11]
; %bb.907:
	v_bfe_u32 v3, v20, 20, 1
	s_mov_b32 s12, 0x407ffff
	v_add3_u32 v3, v20, v3, s12
	v_lshrrev_b32_e32 v4, 20, v3
	v_and_b32_e32 v3, 0xff00000, v3
	s_mov_b32 s12, 0x7f00000
	v_mov_b32_e32 v5, 0x7e
	v_cmp_ne_u32_e32 vcc, s12, v3
	v_cndmask_b32_e32 v3, v5, v4, vcc
; %bb.908:
	s_andn2_saveexec_b64 s[10:11], s[10:11]
; %bb.909:
	s_mov_b32 s12, 0x46800000
	v_add_f32_e64 v3, |v20|, s12
; %bb.910:
	s_or_b64 exec, exec, s[10:11]
                                        ; implicit-def: $vgpr4
.LBB20_911:
	s_andn2_saveexec_b64 s[8:9], s[8:9]
; %bb.912:
	s_mov_b32 s10, 0x7f800000
	v_mov_b32_e32 v3, 0x7e
	v_mov_b32_e32 v5, 0x7f
	v_cmp_lt_u32_e32 vcc, s10, v4
	v_cndmask_b32_e32 v3, v3, v5, vcc
; %bb.913:
	s_or_b64 exec, exec, s[8:9]
	v_lshrrev_b32_e32 v4, 24, v20
	s_movk_i32 s8, 0x80
	v_and_or_b32 v3, v4, s8, v3
	global_store_byte v[1:2], v3, off
.LBB20_914:
	s_mov_b64 s[8:9], 0
.LBB20_915:
	s_andn2_b64 vcc, exec, s[8:9]
	s_cbranch_vccnz .LBB20_925
; %bb.916:
	v_and_b32_e32 v4, 0x7fffffff, v20
	s_mov_b32 s8, 0x47800000
	v_cmp_gt_u32_e32 vcc, s8, v4
                                        ; implicit-def: $vgpr3
	s_and_saveexec_b64 s[8:9], vcc
	s_xor_b64 s[8:9], exec, s[8:9]
	s_cbranch_execz .LBB20_922
; %bb.917:
	s_mov_b32 s10, 0x387fffff
	v_cmp_lt_u32_e32 vcc, s10, v4
                                        ; implicit-def: $vgpr3
	s_and_saveexec_b64 s[10:11], vcc
	s_xor_b64 s[10:11], exec, s[10:11]
; %bb.918:
	v_bfe_u32 v3, v20, 21, 1
	s_mov_b32 s12, 0x80fffff
	v_add3_u32 v3, v20, v3, s12
	v_lshrrev_b32_e32 v3, 21, v3
; %bb.919:
	s_andn2_saveexec_b64 s[10:11], s[10:11]
; %bb.920:
	s_mov_b32 s12, 0x43000000
	v_add_f32_e64 v3, |v20|, s12
; %bb.921:
	s_or_b64 exec, exec, s[10:11]
                                        ; implicit-def: $vgpr4
.LBB20_922:
	s_andn2_saveexec_b64 s[8:9], s[8:9]
; %bb.923:
	s_mov_b32 s10, 0x7f800000
	v_mov_b32_e32 v3, 0x7c
	v_mov_b32_e32 v5, 0x7f
	v_cmp_lt_u32_e32 vcc, s10, v4
	v_cndmask_b32_e32 v3, v3, v5, vcc
; %bb.924:
	s_or_b64 exec, exec, s[8:9]
	v_lshrrev_b32_e32 v4, 24, v20
	s_movk_i32 s8, 0x80
	v_and_or_b32 v3, v4, s8, v3
	global_store_byte v[1:2], v3, off
.LBB20_925:
	s_mov_b64 s[8:9], 0
	s_mov_b64 s[10:11], -1
.LBB20_926:
	s_andn2_b64 vcc, exec, s[8:9]
	s_mov_b64 s[8:9], 0
	s_cbranch_vccnz .LBB20_933
; %bb.927:
	s_cmp_gt_i32 s17, 14
	s_mov_b64 s[12:13], -1
	s_cbranch_scc0 .LBB20_931
; %bb.928:
	s_cmp_eq_u32 s17, 15
	s_mov_b64 s[4:5], -1
	s_cbranch_scc0 .LBB20_930
; %bb.929:
	v_bfe_u32 v3, v20, 16, 1
	s_movk_i32 s4, 0x7fff
	v_add3_u32 v3, v20, v3, s4
	v_cmp_o_f32_e32 vcc, v20, v20
	v_mov_b32_e32 v4, 0x7fc0
	v_cndmask_b32_sdwa v3, v4, v3, vcc dst_sel:DWORD dst_unused:UNUSED_PAD src0_sel:DWORD src1_sel:WORD_1
	global_store_short v[1:2], v3, off
	s_mov_b64 s[4:5], 0
	s_mov_b64 s[10:11], -1
.LBB20_930:
	s_mov_b64 s[12:13], 0
.LBB20_931:
	s_and_b64 vcc, exec, s[12:13]
	s_cbranch_vccz .LBB20_933
; %bb.932:
	s_cmp_lg_u32 s17, 11
	s_mov_b64 s[8:9], -1
	s_cselect_b64 s[4:5], -1, 0
.LBB20_933:
	s_and_b64 vcc, exec, s[4:5]
	s_cbranch_vccnz .LBB20_1111
; %bb.934:
	s_andn2_b64 vcc, exec, s[8:9]
	s_cbranch_vccnz .LBB20_936
.LBB20_935:
	v_cmp_neq_f32_e32 vcc, 0, v20
	v_cndmask_b32_e64 v3, 0, 1, vcc
	s_mov_b64 s[10:11], -1
	global_store_byte v[1:2], v3, off
.LBB20_936:
.LBB20_937:
	s_andn2_b64 vcc, exec, s[10:11]
	s_cbranch_vccnz .LBB20_1053
.LBB20_938:
	v_mov_b32_e32 v1, s37
	v_add_co_u32_e32 v2, vcc, s36, v26
	s_cmp_lt_i32 s16, 11
	v_addc_co_u32_e32 v3, vcc, 0, v1, vcc
	s_cbranch_scc1 .LBB20_1098
; %bb.939:
	s_and_b32 s17, 0xffff, s16
	s_mov_b64 s[10:11], -1
	s_mov_b64 s[8:9], 0
	s_cmp_gt_i32 s17, 25
	s_mov_b64 s[4:5], 0
	s_cbranch_scc0 .LBB20_972
; %bb.940:
	s_cmp_gt_i32 s17, 28
	s_cbranch_scc0 .LBB20_956
; %bb.941:
	s_cmp_gt_i32 s17, 43
	;; [unrolled: 3-line block ×3, first 2 shown]
	s_cbranch_scc0 .LBB20_946
; %bb.943:
	s_cmp_eq_u32 s17, 46
	s_mov_b64 s[4:5], -1
	s_cbranch_scc0 .LBB20_945
; %bb.944:
	v_bfe_u32 v1, v0, 16, 1
	s_movk_i32 s4, 0x7fff
	v_add3_u32 v1, v0, v1, s4
	v_cmp_o_f32_e32 vcc, v0, v0
	v_mov_b32_e32 v4, 0x7fc0
	v_cndmask_b32_sdwa v1, v4, v1, vcc dst_sel:DWORD dst_unused:UNUSED_PAD src0_sel:DWORD src1_sel:WORD_1
	global_store_dword v[2:3], v1, off
	s_mov_b64 s[4:5], 0
.LBB20_945:
	s_mov_b64 s[10:11], 0
.LBB20_946:
	s_and_b64 vcc, exec, s[10:11]
	s_cbranch_vccz .LBB20_951
; %bb.947:
	s_cmp_eq_u32 s17, 44
	s_mov_b64 s[4:5], -1
	s_cbranch_scc0 .LBB20_951
; %bb.948:
	v_bfe_u32 v1, v0, 23, 8
	s_movk_i32 s4, 0xff
	v_cmp_ne_u32_e32 vcc, s4, v1
	v_mov_b32_e32 v4, 0xff
	s_and_saveexec_b64 s[10:11], vcc
; %bb.949:
	s_mov_b32 s4, 0x3fffff
	v_and_b32_e32 v5, 0x400000, v0
	v_and_or_b32 v1, v0, s4, v1
	v_cmp_ne_u32_e32 vcc, 0, v5
	v_cmp_ne_u32_e64 s[4:5], 0, v1
	s_and_b64 s[4:5], vcc, s[4:5]
	v_lshrrev_b32_e32 v4, 23, v0
	v_cndmask_b32_e64 v1, 0, 1, s[4:5]
	v_add_u32_e32 v4, v4, v1
; %bb.950:
	s_or_b64 exec, exec, s[10:11]
	s_mov_b64 s[4:5], 0
	global_store_byte v[2:3], v4, off
.LBB20_951:
	s_mov_b64 s[10:11], 0
.LBB20_952:
	s_and_b64 vcc, exec, s[10:11]
	s_cbranch_vccz .LBB20_955
; %bb.953:
	s_cmp_eq_u32 s17, 29
	s_mov_b64 s[4:5], -1
	s_cbranch_scc0 .LBB20_955
; %bb.954:
	v_trunc_f32_e32 v1, v0
	v_mul_f32_e32 v4, 0x2f800000, v1
	v_floor_f32_e32 v4, v4
	v_fmac_f32_e32 v1, 0xcf800000, v4
	v_cvt_u32_f32_e32 v5, v4
	v_cvt_u32_f32_e32 v4, v1
	s_mov_b64 s[4:5], 0
	global_store_dwordx2 v[2:3], v[4:5], off
.LBB20_955:
	s_mov_b64 s[10:11], 0
.LBB20_956:
	s_and_b64 vcc, exec, s[10:11]
	s_cbranch_vccz .LBB20_971
; %bb.957:
	s_cmp_lt_i32 s17, 27
	s_mov_b64 s[10:11], -1
	s_cbranch_scc1 .LBB20_963
; %bb.958:
	v_cvt_u32_f32_e32 v1, v0
	s_cmp_gt_i32 s17, 27
	s_cbranch_scc0 .LBB20_960
; %bb.959:
	global_store_dword v[2:3], v1, off
	s_mov_b64 s[10:11], 0
.LBB20_960:
	s_andn2_b64 vcc, exec, s[10:11]
	s_cbranch_vccnz .LBB20_962
; %bb.961:
	global_store_short v[2:3], v1, off
.LBB20_962:
	s_mov_b64 s[10:11], 0
.LBB20_963:
	s_andn2_b64 vcc, exec, s[10:11]
	s_cbranch_vccnz .LBB20_971
; %bb.964:
	v_and_b32_e32 v1, 0x7fffffff, v0
	s_mov_b32 s10, 0x43800000
	v_cmp_gt_u32_e32 vcc, s10, v1
	v_mov_b32_e32 v4, 0x80
	s_and_saveexec_b64 s[10:11], vcc
	s_cbranch_execz .LBB20_970
; %bb.965:
	s_mov_b32 s12, 0x3bffffff
	v_cmp_lt_u32_e32 vcc, s12, v1
	s_mov_b64 s[12:13], 0
                                        ; implicit-def: $vgpr1
	s_and_saveexec_b64 s[14:15], vcc
	s_xor_b64 s[14:15], exec, s[14:15]
	s_cbranch_execz .LBB20_1116
; %bb.966:
	v_bfe_u32 v1, v0, 20, 1
	s_mov_b32 s18, 0x487ffff
	v_add3_u32 v1, v0, v1, s18
	s_mov_b64 s[12:13], exec
	v_lshrrev_b32_e32 v1, 20, v1
	s_andn2_saveexec_b64 s[14:15], s[14:15]
	s_cbranch_execnz .LBB20_1117
.LBB20_967:
	s_or_b64 exec, exec, s[14:15]
	v_mov_b32_e32 v4, 0
	s_and_saveexec_b64 s[14:15], s[12:13]
.LBB20_968:
	v_lshrrev_b32_e32 v4, 24, v0
	s_movk_i32 s12, 0x80
	v_and_or_b32 v4, v4, s12, v1
.LBB20_969:
	s_or_b64 exec, exec, s[14:15]
.LBB20_970:
	s_or_b64 exec, exec, s[10:11]
	global_store_byte v[2:3], v4, off
.LBB20_971:
	s_mov_b64 s[10:11], 0
.LBB20_972:
	s_and_b64 vcc, exec, s[10:11]
	s_cbranch_vccz .LBB20_1012
; %bb.973:
	s_cmp_gt_i32 s17, 22
	s_mov_b64 s[8:9], -1
	s_cbranch_scc0 .LBB20_1005
; %bb.974:
	s_cmp_lt_i32 s17, 24
	s_cbranch_scc1 .LBB20_994
; %bb.975:
	s_cmp_gt_i32 s17, 24
	s_cbranch_scc0 .LBB20_983
; %bb.976:
	v_and_b32_e32 v1, 0x7fffffff, v0
	s_mov_b32 s8, 0x47800000
	v_cmp_gt_u32_e32 vcc, s8, v1
	v_mov_b32_e32 v4, 0x80
	s_and_saveexec_b64 s[8:9], vcc
	s_cbranch_execz .LBB20_982
; %bb.977:
	s_mov_b32 s10, 0x37ffffff
	v_cmp_lt_u32_e32 vcc, s10, v1
	s_mov_b64 s[10:11], 0
                                        ; implicit-def: $vgpr1
	s_and_saveexec_b64 s[12:13], vcc
	s_xor_b64 s[12:13], exec, s[12:13]
	s_cbranch_execz .LBB20_1123
; %bb.978:
	v_bfe_u32 v1, v0, 21, 1
	s_mov_b32 s14, 0x88fffff
	v_add3_u32 v1, v0, v1, s14
	s_mov_b64 s[10:11], exec
	v_lshrrev_b32_e32 v1, 21, v1
	s_andn2_saveexec_b64 s[12:13], s[12:13]
	s_cbranch_execnz .LBB20_1124
.LBB20_979:
	s_or_b64 exec, exec, s[12:13]
	v_mov_b32_e32 v4, 0
	s_and_saveexec_b64 s[12:13], s[10:11]
.LBB20_980:
	v_lshrrev_b32_e32 v4, 24, v0
	s_movk_i32 s10, 0x80
	v_and_or_b32 v4, v4, s10, v1
.LBB20_981:
	s_or_b64 exec, exec, s[12:13]
.LBB20_982:
	s_or_b64 exec, exec, s[8:9]
	s_mov_b64 s[8:9], 0
	global_store_byte v[2:3], v4, off
.LBB20_983:
	s_and_b64 vcc, exec, s[8:9]
	s_cbranch_vccz .LBB20_993
; %bb.984:
	v_and_b32_e32 v4, 0x7fffffff, v0
	s_mov_b32 s8, 0x43f00000
	v_cmp_gt_u32_e32 vcc, s8, v4
                                        ; implicit-def: $vgpr1
	s_and_saveexec_b64 s[8:9], vcc
	s_xor_b64 s[8:9], exec, s[8:9]
	s_cbranch_execz .LBB20_990
; %bb.985:
	s_mov_b32 s10, 0x3c7fffff
	v_cmp_lt_u32_e32 vcc, s10, v4
                                        ; implicit-def: $vgpr1
	s_and_saveexec_b64 s[10:11], vcc
	s_xor_b64 s[10:11], exec, s[10:11]
; %bb.986:
	v_bfe_u32 v1, v0, 20, 1
	s_mov_b32 s12, 0x407ffff
	v_add3_u32 v1, v0, v1, s12
	v_lshrrev_b32_e32 v4, 20, v1
	v_and_b32_e32 v1, 0xff00000, v1
	s_mov_b32 s12, 0x7f00000
	v_mov_b32_e32 v5, 0x7e
	v_cmp_ne_u32_e32 vcc, s12, v1
	v_cndmask_b32_e32 v1, v5, v4, vcc
; %bb.987:
	s_andn2_saveexec_b64 s[10:11], s[10:11]
; %bb.988:
	s_mov_b32 s12, 0x46800000
	v_add_f32_e64 v1, |v0|, s12
; %bb.989:
	s_or_b64 exec, exec, s[10:11]
                                        ; implicit-def: $vgpr4
.LBB20_990:
	s_andn2_saveexec_b64 s[8:9], s[8:9]
; %bb.991:
	s_mov_b32 s10, 0x7f800000
	v_mov_b32_e32 v1, 0x7e
	v_mov_b32_e32 v5, 0x7f
	v_cmp_lt_u32_e32 vcc, s10, v4
	v_cndmask_b32_e32 v1, v1, v5, vcc
; %bb.992:
	s_or_b64 exec, exec, s[8:9]
	v_lshrrev_b32_e32 v4, 24, v0
	s_movk_i32 s8, 0x80
	v_and_or_b32 v1, v4, s8, v1
	global_store_byte v[2:3], v1, off
.LBB20_993:
	s_mov_b64 s[8:9], 0
.LBB20_994:
	s_andn2_b64 vcc, exec, s[8:9]
	s_cbranch_vccnz .LBB20_1004
; %bb.995:
	v_and_b32_e32 v4, 0x7fffffff, v0
	s_mov_b32 s8, 0x47800000
	v_cmp_gt_u32_e32 vcc, s8, v4
                                        ; implicit-def: $vgpr1
	s_and_saveexec_b64 s[8:9], vcc
	s_xor_b64 s[8:9], exec, s[8:9]
	s_cbranch_execz .LBB20_1001
; %bb.996:
	s_mov_b32 s10, 0x387fffff
	v_cmp_lt_u32_e32 vcc, s10, v4
                                        ; implicit-def: $vgpr1
	s_and_saveexec_b64 s[10:11], vcc
	s_xor_b64 s[10:11], exec, s[10:11]
; %bb.997:
	v_bfe_u32 v1, v0, 21, 1
	s_mov_b32 s12, 0x80fffff
	v_add3_u32 v1, v0, v1, s12
	v_lshrrev_b32_e32 v1, 21, v1
; %bb.998:
	s_andn2_saveexec_b64 s[10:11], s[10:11]
; %bb.999:
	s_mov_b32 s12, 0x43000000
	v_add_f32_e64 v1, |v0|, s12
; %bb.1000:
	s_or_b64 exec, exec, s[10:11]
                                        ; implicit-def: $vgpr4
.LBB20_1001:
	s_andn2_saveexec_b64 s[8:9], s[8:9]
; %bb.1002:
	s_mov_b32 s10, 0x7f800000
	v_mov_b32_e32 v1, 0x7c
	v_mov_b32_e32 v5, 0x7f
	v_cmp_lt_u32_e32 vcc, s10, v4
	v_cndmask_b32_e32 v1, v1, v5, vcc
; %bb.1003:
	s_or_b64 exec, exec, s[8:9]
	v_lshrrev_b32_e32 v4, 24, v0
	s_movk_i32 s8, 0x80
	v_and_or_b32 v1, v4, s8, v1
	global_store_byte v[2:3], v1, off
.LBB20_1004:
	s_mov_b64 s[8:9], 0
.LBB20_1005:
	s_andn2_b64 vcc, exec, s[8:9]
	s_mov_b64 s[8:9], 0
	s_cbranch_vccnz .LBB20_1012
; %bb.1006:
	s_cmp_gt_i32 s17, 14
	s_mov_b64 s[10:11], -1
	s_cbranch_scc0 .LBB20_1010
; %bb.1007:
	s_cmp_eq_u32 s17, 15
	s_mov_b64 s[4:5], -1
	s_cbranch_scc0 .LBB20_1009
; %bb.1008:
	v_bfe_u32 v1, v0, 16, 1
	s_movk_i32 s4, 0x7fff
	v_add3_u32 v1, v0, v1, s4
	v_cmp_o_f32_e32 vcc, v0, v0
	v_mov_b32_e32 v4, 0x7fc0
	v_cndmask_b32_sdwa v1, v4, v1, vcc dst_sel:DWORD dst_unused:UNUSED_PAD src0_sel:DWORD src1_sel:WORD_1
	global_store_short v[2:3], v1, off
	s_mov_b64 s[4:5], 0
.LBB20_1009:
	s_mov_b64 s[10:11], 0
.LBB20_1010:
	s_and_b64 vcc, exec, s[10:11]
	s_cbranch_vccz .LBB20_1012
; %bb.1011:
	s_cmp_lg_u32 s17, 11
	s_mov_b64 s[8:9], -1
	s_cselect_b64 s[4:5], -1, 0
.LBB20_1012:
	s_and_b64 vcc, exec, s[4:5]
	s_cbranch_vccnz .LBB20_1118
.LBB20_1013:
	s_mov_b64 s[4:5], 0
	s_branch .LBB20_1054
.LBB20_1014:
	s_mov_b64 s[10:11], 0
	s_cbranch_execz .LBB20_937
; %bb.1015:
	s_and_b32 s8, 0xffff, s16
	s_cmp_lt_i32 s8, 5
	s_mov_b64 s[4:5], -1
	s_cbranch_scc1 .LBB20_1036
; %bb.1016:
	s_cmp_lt_i32 s8, 8
	s_cbranch_scc1 .LBB20_1026
; %bb.1017:
	s_cmp_lt_i32 s8, 9
	s_cbranch_scc1 .LBB20_1023
; %bb.1018:
	s_cmp_gt_i32 s8, 9
	s_cbranch_scc0 .LBB20_1020
; %bb.1019:
	v_cvt_f64_f32_e32 v[3:4], v20
	v_mov_b32_e32 v5, 0
	v_mov_b32_e32 v6, v5
	s_mov_b64 s[4:5], 0
	global_store_dwordx4 v[1:2], v[3:6], off
.LBB20_1020:
	s_andn2_b64 vcc, exec, s[4:5]
	s_cbranch_vccnz .LBB20_1022
; %bb.1021:
	v_mov_b32_e32 v21, 0
	global_store_dwordx2 v[1:2], v[20:21], off
.LBB20_1022:
	s_mov_b64 s[4:5], 0
.LBB20_1023:
	s_andn2_b64 vcc, exec, s[4:5]
	s_cbranch_vccnz .LBB20_1025
; %bb.1024:
	v_cvt_f16_f32_e32 v3, v20
	global_store_dword v[1:2], v3, off
.LBB20_1025:
	s_mov_b64 s[4:5], 0
.LBB20_1026:
	s_andn2_b64 vcc, exec, s[4:5]
	s_cbranch_vccnz .LBB20_1035
; %bb.1027:
	s_cmp_lt_i32 s8, 6
	s_mov_b64 s[4:5], -1
	s_cbranch_scc1 .LBB20_1033
; %bb.1028:
	s_cmp_gt_i32 s8, 6
	s_cbranch_scc0 .LBB20_1030
; %bb.1029:
	v_cvt_f64_f32_e32 v[3:4], v20
	s_mov_b64 s[4:5], 0
	global_store_dwordx2 v[1:2], v[3:4], off
.LBB20_1030:
	s_andn2_b64 vcc, exec, s[4:5]
	s_cbranch_vccnz .LBB20_1032
; %bb.1031:
	global_store_dword v[1:2], v20, off
.LBB20_1032:
	s_mov_b64 s[4:5], 0
.LBB20_1033:
	s_andn2_b64 vcc, exec, s[4:5]
	s_cbranch_vccnz .LBB20_1035
; %bb.1034:
	v_cvt_f16_f32_e32 v3, v20
	global_store_short v[1:2], v3, off
.LBB20_1035:
	s_mov_b64 s[4:5], 0
.LBB20_1036:
	s_andn2_b64 vcc, exec, s[4:5]
	s_cbranch_vccnz .LBB20_1052
; %bb.1037:
	s_cmp_lt_i32 s8, 2
	s_mov_b64 s[4:5], -1
	s_cbranch_scc1 .LBB20_1047
; %bb.1038:
	s_cmp_lt_i32 s8, 3
	s_cbranch_scc1 .LBB20_1044
; %bb.1039:
	s_cmp_gt_i32 s8, 3
	s_cbranch_scc0 .LBB20_1041
; %bb.1040:
	v_trunc_f32_e32 v3, v20
	s_mov_b32 s4, 0x2f800000
	v_mul_f32_e64 v4, |v3|, s4
	v_floor_f32_e32 v4, v4
	s_mov_b32 s4, 0xcf800000
	v_cvt_u32_f32_e32 v5, v4
	v_fma_f32 v4, v4, s4, |v3|
	v_cvt_u32_f32_e32 v4, v4
	v_ashrrev_i32_e32 v6, 31, v3
	v_xor_b32_e32 v5, v5, v6
	s_mov_b64 s[4:5], 0
	v_xor_b32_e32 v3, v4, v6
	v_sub_co_u32_e32 v3, vcc, v3, v6
	v_subb_co_u32_e32 v4, vcc, v5, v6, vcc
	global_store_dwordx2 v[1:2], v[3:4], off
.LBB20_1041:
	s_andn2_b64 vcc, exec, s[4:5]
	s_cbranch_vccnz .LBB20_1043
; %bb.1042:
	v_cvt_i32_f32_e32 v3, v20
	global_store_dword v[1:2], v3, off
.LBB20_1043:
	s_mov_b64 s[4:5], 0
.LBB20_1044:
	s_andn2_b64 vcc, exec, s[4:5]
	s_cbranch_vccnz .LBB20_1046
; %bb.1045:
	v_cvt_i32_f32_e32 v3, v20
	global_store_short v[1:2], v3, off
.LBB20_1046:
	s_mov_b64 s[4:5], 0
.LBB20_1047:
	s_andn2_b64 vcc, exec, s[4:5]
	s_cbranch_vccnz .LBB20_1052
; %bb.1048:
	s_cmp_gt_i32 s8, 0
	s_mov_b64 s[4:5], -1
	s_cbranch_scc0 .LBB20_1050
; %bb.1049:
	v_cvt_i32_f32_e32 v3, v20
	s_mov_b64 s[4:5], 0
	global_store_byte v[1:2], v3, off
.LBB20_1050:
	s_andn2_b64 vcc, exec, s[4:5]
	s_cbranch_vccnz .LBB20_1052
; %bb.1051:
	v_trunc_f32_e32 v3, v20
	s_mov_b32 s4, 0x2f800000
	v_mul_f32_e64 v4, |v3|, s4
	v_floor_f32_e32 v4, v4
	s_mov_b32 s4, 0xcf800000
	v_fma_f32 v4, v4, s4, |v3|
	v_cvt_u32_f32_e32 v4, v4
	v_ashrrev_i32_e32 v3, 31, v3
	v_xor_b32_e32 v4, v4, v3
	v_sub_u32_e32 v3, v4, v3
	global_store_byte v[1:2], v3, off
.LBB20_1052:
	s_branch .LBB20_938
.LBB20_1053:
	s_mov_b64 s[4:5], 0
	s_mov_b64 s[8:9], 0
                                        ; implicit-def: $sgpr16
                                        ; implicit-def: $vgpr2_vgpr3
.LBB20_1054:
	s_and_b64 s[48:49], s[8:9], exec
	s_andn2_b64 s[8:9], s[40:41], exec
	s_and_b64 s[6:7], s[6:7], exec
	s_and_b64 s[4:5], s[4:5], exec
	s_or_b64 s[40:41], s[8:9], s[6:7]
.LBB20_1055:
	s_or_b64 exec, exec, s[42:43]
	s_and_saveexec_b64 s[6:7], s[40:41]
	s_cbranch_execz .LBB20_1058
; %bb.1056:
	; divergent unreachable
	s_or_b64 exec, exec, s[6:7]
	s_and_saveexec_b64 s[6:7], s[48:49]
	s_xor_b64 s[6:7], exec, s[6:7]
	s_cbranch_execnz .LBB20_1059
.LBB20_1057:
	s_or_b64 exec, exec, s[6:7]
	s_and_saveexec_b64 s[6:7], s[4:5]
	s_cbranch_execnz .LBB20_1060
	s_branch .LBB20_1097
.LBB20_1058:
	s_or_b64 exec, exec, s[6:7]
	s_and_saveexec_b64 s[6:7], s[48:49]
	s_xor_b64 s[6:7], exec, s[6:7]
	s_cbranch_execz .LBB20_1057
.LBB20_1059:
	v_cmp_neq_f32_e32 vcc, 0, v0
	v_cndmask_b32_e64 v1, 0, 1, vcc
	global_store_byte v[2:3], v1, off
	s_or_b64 exec, exec, s[6:7]
	s_and_saveexec_b64 s[6:7], s[4:5]
	s_cbranch_execz .LBB20_1097
.LBB20_1060:
	s_sext_i32_i16 s6, s16
	s_cmp_lt_i32 s6, 5
	s_mov_b64 s[4:5], -1
	s_cbranch_scc1 .LBB20_1081
; %bb.1061:
	s_cmp_lt_i32 s6, 8
	s_cbranch_scc1 .LBB20_1071
; %bb.1062:
	s_cmp_lt_i32 s6, 9
	s_cbranch_scc1 .LBB20_1068
; %bb.1063:
	s_cmp_gt_i32 s6, 9
	s_cbranch_scc0 .LBB20_1065
; %bb.1064:
	v_cvt_f64_f32_e32 v[4:5], v0
	v_mov_b32_e32 v6, 0
	v_mov_b32_e32 v7, v6
	s_mov_b64 s[4:5], 0
	global_store_dwordx4 v[2:3], v[4:7], off
.LBB20_1065:
	s_andn2_b64 vcc, exec, s[4:5]
	s_cbranch_vccnz .LBB20_1067
; %bb.1066:
	v_mov_b32_e32 v1, 0
	global_store_dwordx2 v[2:3], v[0:1], off
.LBB20_1067:
	s_mov_b64 s[4:5], 0
.LBB20_1068:
	s_andn2_b64 vcc, exec, s[4:5]
	s_cbranch_vccnz .LBB20_1070
; %bb.1069:
	v_cvt_f16_f32_e32 v1, v0
	global_store_dword v[2:3], v1, off
.LBB20_1070:
	s_mov_b64 s[4:5], 0
.LBB20_1071:
	s_andn2_b64 vcc, exec, s[4:5]
	s_cbranch_vccnz .LBB20_1080
; %bb.1072:
	s_sext_i32_i16 s6, s16
	s_cmp_lt_i32 s6, 6
	s_mov_b64 s[4:5], -1
	s_cbranch_scc1 .LBB20_1078
; %bb.1073:
	s_cmp_gt_i32 s6, 6
	s_cbranch_scc0 .LBB20_1075
; %bb.1074:
	v_cvt_f64_f32_e32 v[4:5], v0
	s_mov_b64 s[4:5], 0
	global_store_dwordx2 v[2:3], v[4:5], off
.LBB20_1075:
	s_andn2_b64 vcc, exec, s[4:5]
	s_cbranch_vccnz .LBB20_1077
; %bb.1076:
	global_store_dword v[2:3], v0, off
.LBB20_1077:
	s_mov_b64 s[4:5], 0
.LBB20_1078:
	s_andn2_b64 vcc, exec, s[4:5]
	s_cbranch_vccnz .LBB20_1080
; %bb.1079:
	v_cvt_f16_f32_e32 v1, v0
	global_store_short v[2:3], v1, off
.LBB20_1080:
	s_mov_b64 s[4:5], 0
.LBB20_1081:
	s_andn2_b64 vcc, exec, s[4:5]
	s_cbranch_vccnz .LBB20_1097
; %bb.1082:
	s_sext_i32_i16 s6, s16
	s_cmp_lt_i32 s6, 2
	s_mov_b64 s[4:5], -1
	s_cbranch_scc1 .LBB20_1092
; %bb.1083:
	s_cmp_lt_i32 s6, 3
	s_cbranch_scc1 .LBB20_1089
; %bb.1084:
	s_cmp_gt_i32 s6, 3
	s_cbranch_scc0 .LBB20_1086
; %bb.1085:
	v_trunc_f32_e32 v1, v0
	s_mov_b32 s4, 0x2f800000
	v_mul_f32_e64 v4, |v1|, s4
	v_floor_f32_e32 v4, v4
	s_mov_b32 s4, 0xcf800000
	v_cvt_u32_f32_e32 v5, v4
	v_fma_f32 v4, v4, s4, |v1|
	v_cvt_u32_f32_e32 v4, v4
	v_ashrrev_i32_e32 v1, 31, v1
	v_xor_b32_e32 v5, v5, v1
	s_mov_b64 s[4:5], 0
	v_xor_b32_e32 v4, v4, v1
	v_sub_co_u32_e32 v4, vcc, v4, v1
	v_subb_co_u32_e32 v5, vcc, v5, v1, vcc
	global_store_dwordx2 v[2:3], v[4:5], off
.LBB20_1086:
	s_andn2_b64 vcc, exec, s[4:5]
	s_cbranch_vccnz .LBB20_1088
; %bb.1087:
	v_cvt_i32_f32_e32 v1, v0
	global_store_dword v[2:3], v1, off
.LBB20_1088:
	s_mov_b64 s[4:5], 0
.LBB20_1089:
	s_andn2_b64 vcc, exec, s[4:5]
	s_cbranch_vccnz .LBB20_1091
; %bb.1090:
	v_cvt_i32_f32_e32 v1, v0
	global_store_short v[2:3], v1, off
.LBB20_1091:
	s_mov_b64 s[4:5], 0
.LBB20_1092:
	s_andn2_b64 vcc, exec, s[4:5]
	s_cbranch_vccnz .LBB20_1097
; %bb.1093:
	s_sext_i32_i16 s4, s16
	s_cmp_gt_i32 s4, 0
	s_mov_b64 s[4:5], -1
	s_cbranch_scc0 .LBB20_1095
; %bb.1094:
	v_cvt_i32_f32_e32 v1, v0
	s_mov_b64 s[4:5], 0
	global_store_byte v[2:3], v1, off
.LBB20_1095:
	s_andn2_b64 vcc, exec, s[4:5]
	s_cbranch_vccnz .LBB20_1097
; %bb.1096:
	v_trunc_f32_e32 v0, v0
	s_mov_b32 s4, 0x2f800000
	v_mul_f32_e64 v1, |v0|, s4
	v_floor_f32_e32 v1, v1
	s_mov_b32 s4, 0xcf800000
	v_fma_f32 v1, v1, s4, |v0|
	v_cvt_u32_f32_e32 v1, v1
	v_ashrrev_i32_e32 v0, 31, v0
	v_xor_b32_e32 v1, v1, v0
	v_sub_u32_e32 v0, v1, v0
	global_store_byte v[2:3], v0, off
	s_endpgm
.LBB20_1097:
	s_endpgm
.LBB20_1098:
	s_mov_b64 s[8:9], 0
	s_mov_b64 s[4:5], -1
	s_branch .LBB20_1054
.LBB20_1099:
	s_andn2_saveexec_b64 s[12:13], s[12:13]
	s_cbranch_execz .LBB20_651
.LBB20_1100:
	s_mov_b32 s16, 0x46000000
	v_add_f32_e64 v3, |v22|, s16
	v_and_b32_e32 v3, 0xff, v3
	v_cmp_ne_u32_e32 vcc, 0, v3
	s_andn2_b64 s[10:11], s[10:11], exec
	s_and_b64 s[16:17], vcc, exec
	s_or_b64 s[10:11], s[10:11], s[16:17]
	s_or_b64 exec, exec, s[12:13]
	v_mov_b32_e32 v4, 0
	s_and_saveexec_b64 s[12:13], s[10:11]
	s_cbranch_execnz .LBB20_652
	s_branch .LBB20_653
.LBB20_1101:
	s_or_b64 s[6:7], s[40:41], exec
	s_trap 2
	s_cbranch_execz .LBB20_699
	s_branch .LBB20_700
.LBB20_1102:
	s_andn2_saveexec_b64 s[10:11], s[10:11]
	s_cbranch_execz .LBB20_664
.LBB20_1103:
	s_mov_b32 s12, 0x42800000
	v_add_f32_e64 v3, |v22|, s12
	v_and_b32_e32 v3, 0xff, v3
	v_cmp_ne_u32_e32 vcc, 0, v3
	s_andn2_b64 s[8:9], s[8:9], exec
	s_and_b64 s[12:13], vcc, exec
	s_or_b64 s[8:9], s[8:9], s[12:13]
	s_or_b64 exec, exec, s[10:11]
	v_mov_b32_e32 v4, 0
	s_and_saveexec_b64 s[10:11], s[8:9]
	s_cbranch_execnz .LBB20_665
	s_branch .LBB20_666
.LBB20_1104:
	s_andn2_saveexec_b64 s[14:15], s[14:15]
	s_cbranch_execz .LBB20_769
.LBB20_1105:
	s_mov_b32 s18, 0x46000000
	v_add_f32_e64 v3, |v21|, s18
	v_and_b32_e32 v3, 0xff, v3
	v_cmp_ne_u32_e32 vcc, 0, v3
	s_andn2_b64 s[12:13], s[12:13], exec
	s_and_b64 s[18:19], vcc, exec
	s_or_b64 s[12:13], s[12:13], s[18:19]
	s_or_b64 exec, exec, s[14:15]
	v_mov_b32_e32 v4, 0
	s_and_saveexec_b64 s[14:15], s[12:13]
	s_cbranch_execnz .LBB20_770
	s_branch .LBB20_771
.LBB20_1106:
	s_trap 2
	s_or_b64 s[6:7], s[6:7], exec
	s_cbranch_execz .LBB20_817
	s_branch .LBB20_818
.LBB20_1107:
	s_andn2_saveexec_b64 s[12:13], s[12:13]
	s_cbranch_execz .LBB20_782
.LBB20_1108:
	s_mov_b32 s14, 0x42800000
	v_add_f32_e64 v3, |v21|, s14
	v_and_b32_e32 v3, 0xff, v3
	v_cmp_ne_u32_e32 vcc, 0, v3
	s_andn2_b64 s[10:11], s[10:11], exec
	s_and_b64 s[14:15], vcc, exec
	s_or_b64 s[10:11], s[10:11], s[14:15]
	s_or_b64 exec, exec, s[12:13]
	v_mov_b32_e32 v4, 0
	s_and_saveexec_b64 s[12:13], s[10:11]
	s_cbranch_execnz .LBB20_783
	s_branch .LBB20_784
.LBB20_1109:
	s_andn2_saveexec_b64 s[14:15], s[14:15]
	s_cbranch_execz .LBB20_887
.LBB20_1110:
	s_mov_b32 s18, 0x46000000
	v_add_f32_e64 v3, |v20|, s18
	v_and_b32_e32 v3, 0xff, v3
	v_cmp_ne_u32_e32 vcc, 0, v3
	s_andn2_b64 s[12:13], s[12:13], exec
	s_and_b64 s[18:19], vcc, exec
	s_or_b64 s[12:13], s[12:13], s[18:19]
	s_or_b64 exec, exec, s[14:15]
	v_mov_b32_e32 v4, 0
	s_and_saveexec_b64 s[14:15], s[12:13]
	s_cbranch_execnz .LBB20_888
	s_branch .LBB20_889
.LBB20_1111:
	s_trap 2
	s_or_b64 s[6:7], s[6:7], exec
	s_cbranch_execz .LBB20_935
	s_branch .LBB20_936
.LBB20_1112:
	s_andn2_saveexec_b64 s[10:11], s[10:11]
	s_cbranch_execz .LBB20_338
.LBB20_1113:
	s_mov_b32 s14, 0x46000000
	v_add_f32_e64 v1, |v0|, s14
	v_and_b32_e32 v1, 0xff, v1
	v_cmp_ne_u32_e32 vcc, 0, v1
	s_andn2_b64 s[8:9], s[8:9], exec
	s_and_b64 s[14:15], vcc, exec
	s_or_b64 s[8:9], s[8:9], s[14:15]
	s_or_b64 exec, exec, s[10:11]
	v_mov_b32_e32 v4, 0
	s_and_saveexec_b64 s[10:11], s[8:9]
	s_cbranch_execnz .LBB20_339
	s_branch .LBB20_340
.LBB20_1114:
	s_andn2_saveexec_b64 s[12:13], s[12:13]
	s_cbranch_execz .LBB20_900
.LBB20_1115:
	s_mov_b32 s14, 0x42800000
	v_add_f32_e64 v3, |v20|, s14
	v_and_b32_e32 v3, 0xff, v3
	v_cmp_ne_u32_e32 vcc, 0, v3
	s_andn2_b64 s[10:11], s[10:11], exec
	s_and_b64 s[14:15], vcc, exec
	s_or_b64 s[10:11], s[10:11], s[14:15]
	s_or_b64 exec, exec, s[12:13]
	v_mov_b32_e32 v4, 0
	s_and_saveexec_b64 s[12:13], s[10:11]
	s_cbranch_execnz .LBB20_901
	s_branch .LBB20_902
.LBB20_1116:
	s_andn2_saveexec_b64 s[14:15], s[14:15]
	s_cbranch_execz .LBB20_967
.LBB20_1117:
	s_mov_b32 s18, 0x46000000
	v_add_f32_e64 v1, |v0|, s18
	v_and_b32_e32 v1, 0xff, v1
	v_cmp_ne_u32_e32 vcc, 0, v1
	s_andn2_b64 s[12:13], s[12:13], exec
	s_and_b64 s[18:19], vcc, exec
	s_or_b64 s[12:13], s[12:13], s[18:19]
	s_or_b64 exec, exec, s[14:15]
	v_mov_b32_e32 v4, 0
	s_and_saveexec_b64 s[14:15], s[12:13]
	s_cbranch_execnz .LBB20_968
	s_branch .LBB20_969
.LBB20_1118:
	s_mov_b64 s[8:9], 0
	s_or_b64 s[6:7], s[6:7], exec
	s_trap 2
	s_branch .LBB20_1013
.LBB20_1119:
	s_andn2_saveexec_b64 s[10:11], s[10:11]
	s_cbranch_execz .LBB20_351
.LBB20_1120:
	s_mov_b32 s14, 0x42800000
	v_add_f32_e64 v1, |v0|, s14
	v_and_b32_e32 v1, 0xff, v1
	v_cmp_ne_u32_e32 vcc, 0, v1
	s_andn2_b64 s[8:9], s[8:9], exec
	s_and_b64 s[14:15], vcc, exec
	s_or_b64 s[8:9], s[8:9], s[14:15]
	s_or_b64 exec, exec, s[10:11]
	v_mov_b32_e32 v4, 0
	s_and_saveexec_b64 s[10:11], s[8:9]
	s_cbranch_execnz .LBB20_352
	s_branch .LBB20_353
.LBB20_1121:
	s_andn2_saveexec_b64 s[10:11], s[10:11]
	s_cbranch_execz .LBB20_476
.LBB20_1122:
	s_mov_b32 s12, 0x46000000
	v_add_f32_e64 v1, |v0|, s12
	v_and_b32_e32 v1, 0xff, v1
	v_cmp_ne_u32_e32 vcc, 0, v1
	s_andn2_b64 s[8:9], s[8:9], exec
	s_and_b64 s[12:13], vcc, exec
	s_or_b64 s[8:9], s[8:9], s[12:13]
	s_or_b64 exec, exec, s[10:11]
	v_mov_b32_e32 v4, 0
	s_and_saveexec_b64 s[10:11], s[8:9]
	s_cbranch_execnz .LBB20_477
	s_branch .LBB20_478
.LBB20_1123:
	s_andn2_saveexec_b64 s[12:13], s[12:13]
	s_cbranch_execz .LBB20_979
.LBB20_1124:
	s_mov_b32 s14, 0x42800000
	v_add_f32_e64 v1, |v0|, s14
	v_and_b32_e32 v1, 0xff, v1
	v_cmp_ne_u32_e32 vcc, 0, v1
	s_andn2_b64 s[10:11], s[10:11], exec
	s_and_b64 s[14:15], vcc, exec
	s_or_b64 s[10:11], s[10:11], s[14:15]
	s_or_b64 exec, exec, s[12:13]
	v_mov_b32_e32 v4, 0
	s_and_saveexec_b64 s[12:13], s[10:11]
	s_cbranch_execnz .LBB20_980
	s_branch .LBB20_981
.LBB20_1125:
	s_andn2_saveexec_b64 s[12:13], s[12:13]
	s_cbranch_execz .LBB20_488
.LBB20_1126:
	s_mov_b32 s16, 0x42800000
	v_add_f32_e64 v1, |v0|, s16
	v_and_b32_e32 v1, 0xff, v1
	v_cmp_ne_u32_e32 vcc, 0, v1
	s_andn2_b64 s[10:11], s[10:11], exec
	s_and_b64 s[16:17], vcc, exec
	s_or_b64 s[10:11], s[10:11], s[16:17]
	s_or_b64 exec, exec, s[12:13]
	v_mov_b32_e32 v4, 0
	s_and_saveexec_b64 s[12:13], s[10:11]
	s_cbranch_execnz .LBB20_489
	s_branch .LBB20_490
	.section	.rodata,"a",@progbits
	.p2align	6, 0x0
	.amdhsa_kernel _ZN2at6native32elementwise_kernel_manual_unrollILi128ELi4EZNS0_15gpu_kernel_implIZZZNS0_12_GLOBAL__N_121bessel_j1_kernel_cudaERNS_18TensorIteratorBaseEENKUlvE_clEvENKUlvE0_clEvEUlfE_EEvS5_RKT_EUlibE0_EEviT1_
		.amdhsa_group_segment_fixed_size 0
		.amdhsa_private_segment_fixed_size 0
		.amdhsa_kernarg_size 360
		.amdhsa_user_sgpr_count 6
		.amdhsa_user_sgpr_private_segment_buffer 1
		.amdhsa_user_sgpr_dispatch_ptr 0
		.amdhsa_user_sgpr_queue_ptr 0
		.amdhsa_user_sgpr_kernarg_segment_ptr 1
		.amdhsa_user_sgpr_dispatch_id 0
		.amdhsa_user_sgpr_flat_scratch_init 0
		.amdhsa_user_sgpr_private_segment_size 0
		.amdhsa_uses_dynamic_stack 0
		.amdhsa_system_sgpr_private_segment_wavefront_offset 0
		.amdhsa_system_sgpr_workgroup_id_x 1
		.amdhsa_system_sgpr_workgroup_id_y 0
		.amdhsa_system_sgpr_workgroup_id_z 0
		.amdhsa_system_sgpr_workgroup_info 0
		.amdhsa_system_vgpr_workitem_id 0
		.amdhsa_next_free_vgpr 34
		.amdhsa_next_free_sgpr 79
		.amdhsa_reserve_vcc 1
		.amdhsa_reserve_flat_scratch 0
		.amdhsa_float_round_mode_32 0
		.amdhsa_float_round_mode_16_64 0
		.amdhsa_float_denorm_mode_32 3
		.amdhsa_float_denorm_mode_16_64 3
		.amdhsa_dx10_clamp 1
		.amdhsa_ieee_mode 1
		.amdhsa_fp16_overflow 0
		.amdhsa_exception_fp_ieee_invalid_op 0
		.amdhsa_exception_fp_denorm_src 0
		.amdhsa_exception_fp_ieee_div_zero 0
		.amdhsa_exception_fp_ieee_overflow 0
		.amdhsa_exception_fp_ieee_underflow 0
		.amdhsa_exception_fp_ieee_inexact 0
		.amdhsa_exception_int_div_zero 0
	.end_amdhsa_kernel
	.section	.text._ZN2at6native32elementwise_kernel_manual_unrollILi128ELi4EZNS0_15gpu_kernel_implIZZZNS0_12_GLOBAL__N_121bessel_j1_kernel_cudaERNS_18TensorIteratorBaseEENKUlvE_clEvENKUlvE0_clEvEUlfE_EEvS5_RKT_EUlibE0_EEviT1_,"axG",@progbits,_ZN2at6native32elementwise_kernel_manual_unrollILi128ELi4EZNS0_15gpu_kernel_implIZZZNS0_12_GLOBAL__N_121bessel_j1_kernel_cudaERNS_18TensorIteratorBaseEENKUlvE_clEvENKUlvE0_clEvEUlfE_EEvS5_RKT_EUlibE0_EEviT1_,comdat
.Lfunc_end20:
	.size	_ZN2at6native32elementwise_kernel_manual_unrollILi128ELi4EZNS0_15gpu_kernel_implIZZZNS0_12_GLOBAL__N_121bessel_j1_kernel_cudaERNS_18TensorIteratorBaseEENKUlvE_clEvENKUlvE0_clEvEUlfE_EEvS5_RKT_EUlibE0_EEviT1_, .Lfunc_end20-_ZN2at6native32elementwise_kernel_manual_unrollILi128ELi4EZNS0_15gpu_kernel_implIZZZNS0_12_GLOBAL__N_121bessel_j1_kernel_cudaERNS_18TensorIteratorBaseEENKUlvE_clEvENKUlvE0_clEvEUlfE_EEvS5_RKT_EUlibE0_EEviT1_
                                        ; -- End function
	.set _ZN2at6native32elementwise_kernel_manual_unrollILi128ELi4EZNS0_15gpu_kernel_implIZZZNS0_12_GLOBAL__N_121bessel_j1_kernel_cudaERNS_18TensorIteratorBaseEENKUlvE_clEvENKUlvE0_clEvEUlfE_EEvS5_RKT_EUlibE0_EEviT1_.num_vgpr, max(34, .L_ZN2at6native6invokeIZZZNS0_12_GLOBAL__N_121bessel_j1_kernel_cudaERNS_18TensorIteratorBaseEENKUlvE_clEvENKUlvE0_clEvEUlfE_j15function_traitsIS7_EEENT1_11result_typeERKT_PrKPcPKT0_PKN3c1010ScalarTypeEi.num_vgpr)
	.set _ZN2at6native32elementwise_kernel_manual_unrollILi128ELi4EZNS0_15gpu_kernel_implIZZZNS0_12_GLOBAL__N_121bessel_j1_kernel_cudaERNS_18TensorIteratorBaseEENKUlvE_clEvENKUlvE0_clEvEUlfE_EEvS5_RKT_EUlibE0_EEviT1_.num_agpr, max(0, .L_ZN2at6native6invokeIZZZNS0_12_GLOBAL__N_121bessel_j1_kernel_cudaERNS_18TensorIteratorBaseEENKUlvE_clEvENKUlvE0_clEvEUlfE_j15function_traitsIS7_EEENT1_11result_typeERKT_PrKPcPKT0_PKN3c1010ScalarTypeEi.num_agpr)
	.set _ZN2at6native32elementwise_kernel_manual_unrollILi128ELi4EZNS0_15gpu_kernel_implIZZZNS0_12_GLOBAL__N_121bessel_j1_kernel_cudaERNS_18TensorIteratorBaseEENKUlvE_clEvENKUlvE0_clEvEUlfE_EEvS5_RKT_EUlibE0_EEviT1_.numbered_sgpr, max(79, .L_ZN2at6native6invokeIZZZNS0_12_GLOBAL__N_121bessel_j1_kernel_cudaERNS_18TensorIteratorBaseEENKUlvE_clEvENKUlvE0_clEvEUlfE_j15function_traitsIS7_EEENT1_11result_typeERKT_PrKPcPKT0_PKN3c1010ScalarTypeEi.numbered_sgpr)
	.set _ZN2at6native32elementwise_kernel_manual_unrollILi128ELi4EZNS0_15gpu_kernel_implIZZZNS0_12_GLOBAL__N_121bessel_j1_kernel_cudaERNS_18TensorIteratorBaseEENKUlvE_clEvENKUlvE0_clEvEUlfE_EEvS5_RKT_EUlibE0_EEviT1_.num_named_barrier, max(0, .L_ZN2at6native6invokeIZZZNS0_12_GLOBAL__N_121bessel_j1_kernel_cudaERNS_18TensorIteratorBaseEENKUlvE_clEvENKUlvE0_clEvEUlfE_j15function_traitsIS7_EEENT1_11result_typeERKT_PrKPcPKT0_PKN3c1010ScalarTypeEi.num_named_barrier)
	.set _ZN2at6native32elementwise_kernel_manual_unrollILi128ELi4EZNS0_15gpu_kernel_implIZZZNS0_12_GLOBAL__N_121bessel_j1_kernel_cudaERNS_18TensorIteratorBaseEENKUlvE_clEvENKUlvE0_clEvEUlfE_EEvS5_RKT_EUlibE0_EEviT1_.private_seg_size, 0+max(.L_ZN2at6native6invokeIZZZNS0_12_GLOBAL__N_121bessel_j1_kernel_cudaERNS_18TensorIteratorBaseEENKUlvE_clEvENKUlvE0_clEvEUlfE_j15function_traitsIS7_EEENT1_11result_typeERKT_PrKPcPKT0_PKN3c1010ScalarTypeEi.private_seg_size)
	.set _ZN2at6native32elementwise_kernel_manual_unrollILi128ELi4EZNS0_15gpu_kernel_implIZZZNS0_12_GLOBAL__N_121bessel_j1_kernel_cudaERNS_18TensorIteratorBaseEENKUlvE_clEvENKUlvE0_clEvEUlfE_EEvS5_RKT_EUlibE0_EEviT1_.uses_vcc, or(1, .L_ZN2at6native6invokeIZZZNS0_12_GLOBAL__N_121bessel_j1_kernel_cudaERNS_18TensorIteratorBaseEENKUlvE_clEvENKUlvE0_clEvEUlfE_j15function_traitsIS7_EEENT1_11result_typeERKT_PrKPcPKT0_PKN3c1010ScalarTypeEi.uses_vcc)
	.set _ZN2at6native32elementwise_kernel_manual_unrollILi128ELi4EZNS0_15gpu_kernel_implIZZZNS0_12_GLOBAL__N_121bessel_j1_kernel_cudaERNS_18TensorIteratorBaseEENKUlvE_clEvENKUlvE0_clEvEUlfE_EEvS5_RKT_EUlibE0_EEviT1_.uses_flat_scratch, or(0, .L_ZN2at6native6invokeIZZZNS0_12_GLOBAL__N_121bessel_j1_kernel_cudaERNS_18TensorIteratorBaseEENKUlvE_clEvENKUlvE0_clEvEUlfE_j15function_traitsIS7_EEENT1_11result_typeERKT_PrKPcPKT0_PKN3c1010ScalarTypeEi.uses_flat_scratch)
	.set _ZN2at6native32elementwise_kernel_manual_unrollILi128ELi4EZNS0_15gpu_kernel_implIZZZNS0_12_GLOBAL__N_121bessel_j1_kernel_cudaERNS_18TensorIteratorBaseEENKUlvE_clEvENKUlvE0_clEvEUlfE_EEvS5_RKT_EUlibE0_EEviT1_.has_dyn_sized_stack, or(0, .L_ZN2at6native6invokeIZZZNS0_12_GLOBAL__N_121bessel_j1_kernel_cudaERNS_18TensorIteratorBaseEENKUlvE_clEvENKUlvE0_clEvEUlfE_j15function_traitsIS7_EEENT1_11result_typeERKT_PrKPcPKT0_PKN3c1010ScalarTypeEi.has_dyn_sized_stack)
	.set _ZN2at6native32elementwise_kernel_manual_unrollILi128ELi4EZNS0_15gpu_kernel_implIZZZNS0_12_GLOBAL__N_121bessel_j1_kernel_cudaERNS_18TensorIteratorBaseEENKUlvE_clEvENKUlvE0_clEvEUlfE_EEvS5_RKT_EUlibE0_EEviT1_.has_recursion, or(0, .L_ZN2at6native6invokeIZZZNS0_12_GLOBAL__N_121bessel_j1_kernel_cudaERNS_18TensorIteratorBaseEENKUlvE_clEvENKUlvE0_clEvEUlfE_j15function_traitsIS7_EEENT1_11result_typeERKT_PrKPcPKT0_PKN3c1010ScalarTypeEi.has_recursion)
	.set _ZN2at6native32elementwise_kernel_manual_unrollILi128ELi4EZNS0_15gpu_kernel_implIZZZNS0_12_GLOBAL__N_121bessel_j1_kernel_cudaERNS_18TensorIteratorBaseEENKUlvE_clEvENKUlvE0_clEvEUlfE_EEvS5_RKT_EUlibE0_EEviT1_.has_indirect_call, or(0, .L_ZN2at6native6invokeIZZZNS0_12_GLOBAL__N_121bessel_j1_kernel_cudaERNS_18TensorIteratorBaseEENKUlvE_clEvENKUlvE0_clEvEUlfE_j15function_traitsIS7_EEENT1_11result_typeERKT_PrKPcPKT0_PKN3c1010ScalarTypeEi.has_indirect_call)
	.section	.AMDGPU.csdata,"",@progbits
; Kernel info:
; codeLenInByte = 22120
; TotalNumSgprs: 83
; NumVgprs: 34
; ScratchSize: 0
; MemoryBound: 0
; FloatMode: 240
; IeeeMode: 1
; LDSByteSize: 0 bytes/workgroup (compile time only)
; SGPRBlocks: 10
; VGPRBlocks: 8
; NumSGPRsForWavesPerEU: 83
; NumVGPRsForWavesPerEU: 34
; Occupancy: 7
; WaveLimiterHint : 1
; COMPUTE_PGM_RSRC2:SCRATCH_EN: 0
; COMPUTE_PGM_RSRC2:USER_SGPR: 6
; COMPUTE_PGM_RSRC2:TRAP_HANDLER: 0
; COMPUTE_PGM_RSRC2:TGID_X_EN: 1
; COMPUTE_PGM_RSRC2:TGID_Y_EN: 0
; COMPUTE_PGM_RSRC2:TGID_Z_EN: 0
; COMPUTE_PGM_RSRC2:TIDIG_COMP_CNT: 0
	.section	.AMDGPU.gpr_maximums,"",@progbits
	.set amdgpu.max_num_vgpr, 38
	.set amdgpu.max_num_agpr, 0
	.set amdgpu.max_num_sgpr, 44
	.section	.AMDGPU.csdata,"",@progbits
	.type	__hip_cuid_1dec585800dbb273,@object ; @__hip_cuid_1dec585800dbb273
	.section	.bss,"aw",@nobits
	.globl	__hip_cuid_1dec585800dbb273
__hip_cuid_1dec585800dbb273:
	.byte	0                               ; 0x0
	.size	__hip_cuid_1dec585800dbb273, 1

	.ident	"AMD clang version 22.0.0git (https://github.com/RadeonOpenCompute/llvm-project roc-7.2.4 26084 f58b06dce1f9c15707c5f808fd002e18c2accf7e)"
	.section	".note.GNU-stack","",@progbits
	.addrsig
	.addrsig_sym __hip_cuid_1dec585800dbb273
	.amdgpu_metadata
---
amdhsa.kernels:
  - .args:
      - .offset:         0
        .size:           4
        .value_kind:     by_value
      - .offset:         4
        .size:           1
        .value_kind:     by_value
      - .offset:         8
        .size:           16
        .value_kind:     by_value
    .group_segment_fixed_size: 0
    .kernarg_segment_align: 8
    .kernarg_segment_size: 24
    .language:       OpenCL C
    .language_version:
      - 2
      - 0
    .max_flat_workgroup_size: 256
    .name:           _ZN2at6native29vectorized_elementwise_kernelILi16EZZZNS0_12_GLOBAL__N_121bessel_j1_kernel_cudaERNS_18TensorIteratorBaseEENKUlvE_clEvENKUlvE_clEvEUldE_St5arrayIPcLm2EEEEviT0_T1_
    .private_segment_fixed_size: 0
    .sgpr_count:     52
    .sgpr_spill_count: 0
    .symbol:         _ZN2at6native29vectorized_elementwise_kernelILi16EZZZNS0_12_GLOBAL__N_121bessel_j1_kernel_cudaERNS_18TensorIteratorBaseEENKUlvE_clEvENKUlvE_clEvEUldE_St5arrayIPcLm2EEEEviT0_T1_.kd
    .uniform_work_group_size: 1
    .uses_dynamic_stack: false
    .vgpr_count:     56
    .vgpr_spill_count: 0
    .wavefront_size: 64
  - .args:
      - .offset:         0
        .size:           4
        .value_kind:     by_value
      - .offset:         4
        .size:           1
        .value_kind:     by_value
      - .offset:         8
        .size:           16
        .value_kind:     by_value
    .group_segment_fixed_size: 0
    .kernarg_segment_align: 8
    .kernarg_segment_size: 24
    .language:       OpenCL C
    .language_version:
      - 2
      - 0
    .max_flat_workgroup_size: 256
    .name:           _ZN2at6native29vectorized_elementwise_kernelILi8EZZZNS0_12_GLOBAL__N_121bessel_j1_kernel_cudaERNS_18TensorIteratorBaseEENKUlvE_clEvENKUlvE_clEvEUldE_St5arrayIPcLm2EEEEviT0_T1_
    .private_segment_fixed_size: 0
    .sgpr_count:     52
    .sgpr_spill_count: 0
    .symbol:         _ZN2at6native29vectorized_elementwise_kernelILi8EZZZNS0_12_GLOBAL__N_121bessel_j1_kernel_cudaERNS_18TensorIteratorBaseEENKUlvE_clEvENKUlvE_clEvEUldE_St5arrayIPcLm2EEEEviT0_T1_.kd
    .uniform_work_group_size: 1
    .uses_dynamic_stack: false
    .vgpr_count:     56
    .vgpr_spill_count: 0
    .wavefront_size: 64
  - .args:
      - .offset:         0
        .size:           4
        .value_kind:     by_value
      - .offset:         4
        .size:           1
        .value_kind:     by_value
      - .offset:         8
        .size:           16
        .value_kind:     by_value
    .group_segment_fixed_size: 0
    .kernarg_segment_align: 8
    .kernarg_segment_size: 24
    .language:       OpenCL C
    .language_version:
      - 2
      - 0
    .max_flat_workgroup_size: 256
    .name:           _ZN2at6native29vectorized_elementwise_kernelILi4EZZZNS0_12_GLOBAL__N_121bessel_j1_kernel_cudaERNS_18TensorIteratorBaseEENKUlvE_clEvENKUlvE_clEvEUldE_St5arrayIPcLm2EEEEviT0_T1_
    .private_segment_fixed_size: 0
    .sgpr_count:     52
    .sgpr_spill_count: 0
    .symbol:         _ZN2at6native29vectorized_elementwise_kernelILi4EZZZNS0_12_GLOBAL__N_121bessel_j1_kernel_cudaERNS_18TensorIteratorBaseEENKUlvE_clEvENKUlvE_clEvEUldE_St5arrayIPcLm2EEEEviT0_T1_.kd
    .uniform_work_group_size: 1
    .uses_dynamic_stack: false
    .vgpr_count:     56
    .vgpr_spill_count: 0
    .wavefront_size: 64
  - .args:
      - .offset:         0
        .size:           4
        .value_kind:     by_value
      - .offset:         4
        .size:           1
        .value_kind:     by_value
      - .offset:         8
        .size:           16
        .value_kind:     by_value
    .group_segment_fixed_size: 0
    .kernarg_segment_align: 8
    .kernarg_segment_size: 24
    .language:       OpenCL C
    .language_version:
      - 2
      - 0
    .max_flat_workgroup_size: 256
    .name:           _ZN2at6native29vectorized_elementwise_kernelILi2EZZZNS0_12_GLOBAL__N_121bessel_j1_kernel_cudaERNS_18TensorIteratorBaseEENKUlvE_clEvENKUlvE_clEvEUldE_St5arrayIPcLm2EEEEviT0_T1_
    .private_segment_fixed_size: 0
    .sgpr_count:     52
    .sgpr_spill_count: 0
    .symbol:         _ZN2at6native29vectorized_elementwise_kernelILi2EZZZNS0_12_GLOBAL__N_121bessel_j1_kernel_cudaERNS_18TensorIteratorBaseEENKUlvE_clEvENKUlvE_clEvEUldE_St5arrayIPcLm2EEEEviT0_T1_.kd
    .uniform_work_group_size: 1
    .uses_dynamic_stack: false
    .vgpr_count:     56
    .vgpr_spill_count: 0
    .wavefront_size: 64
  - .args:
      - .offset:         0
        .size:           4
        .value_kind:     by_value
      - .offset:         4
        .size:           1
        .value_kind:     by_value
      - .offset:         8
        .size:           16
        .value_kind:     by_value
      - .offset:         24
        .size:           1
        .value_kind:     by_value
      - .offset:         25
        .size:           1
        .value_kind:     by_value
      - .offset:         26
        .size:           1
        .value_kind:     by_value
      - .offset:         27
        .size:           1
        .value_kind:     by_value
    .group_segment_fixed_size: 0
    .kernarg_segment_align: 8
    .kernarg_segment_size: 28
    .language:       OpenCL C
    .language_version:
      - 2
      - 0
    .max_flat_workgroup_size: 256
    .name:           _ZN2at6native27unrolled_elementwise_kernelIZZZNS0_12_GLOBAL__N_121bessel_j1_kernel_cudaERNS_18TensorIteratorBaseEENKUlvE_clEvENKUlvE_clEvEUldE_St5arrayIPcLm2EELi4E23TrivialOffsetCalculatorILi1EjESC_NS0_6memory15LoadWithoutCastENSD_16StoreWithoutCastEEEviT_T0_T2_T3_T4_T5_
    .private_segment_fixed_size: 0
    .sgpr_count:     49
    .sgpr_spill_count: 0
    .symbol:         _ZN2at6native27unrolled_elementwise_kernelIZZZNS0_12_GLOBAL__N_121bessel_j1_kernel_cudaERNS_18TensorIteratorBaseEENKUlvE_clEvENKUlvE_clEvEUldE_St5arrayIPcLm2EELi4E23TrivialOffsetCalculatorILi1EjESC_NS0_6memory15LoadWithoutCastENSD_16StoreWithoutCastEEEviT_T0_T2_T3_T4_T5_.kd
    .uniform_work_group_size: 1
    .uses_dynamic_stack: false
    .vgpr_count:     56
    .vgpr_spill_count: 0
    .wavefront_size: 64
  - .args:
      - .offset:         0
        .size:           4
        .value_kind:     by_value
      - .offset:         8
        .size:           352
        .value_kind:     by_value
    .group_segment_fixed_size: 0
    .kernarg_segment_align: 8
    .kernarg_segment_size: 360
    .language:       OpenCL C
    .language_version:
      - 2
      - 0
    .max_flat_workgroup_size: 128
    .name:           _ZN2at6native32elementwise_kernel_manual_unrollILi128ELi4EZNS0_22gpu_kernel_impl_nocastIZZZNS0_12_GLOBAL__N_121bessel_j1_kernel_cudaERNS_18TensorIteratorBaseEENKUlvE_clEvENKUlvE_clEvEUldE_EEvS5_RKT_EUlibE_EEviT1_
    .private_segment_fixed_size: 0
    .sgpr_count:     73
    .sgpr_spill_count: 0
    .symbol:         _ZN2at6native32elementwise_kernel_manual_unrollILi128ELi4EZNS0_22gpu_kernel_impl_nocastIZZZNS0_12_GLOBAL__N_121bessel_j1_kernel_cudaERNS_18TensorIteratorBaseEENKUlvE_clEvENKUlvE_clEvEUldE_EEvS5_RKT_EUlibE_EEviT1_.kd
    .uniform_work_group_size: 1
    .uses_dynamic_stack: false
    .vgpr_count:     51
    .vgpr_spill_count: 0
    .wavefront_size: 64
  - .args:
      - .offset:         0
        .size:           4
        .value_kind:     by_value
      - .offset:         8
        .size:           32
        .value_kind:     by_value
    .group_segment_fixed_size: 0
    .kernarg_segment_align: 8
    .kernarg_segment_size: 40
    .language:       OpenCL C
    .language_version:
      - 2
      - 0
    .max_flat_workgroup_size: 128
    .name:           _ZN2at6native32elementwise_kernel_manual_unrollILi128ELi4EZNS0_15gpu_kernel_implIZZZNS0_12_GLOBAL__N_121bessel_j1_kernel_cudaERNS_18TensorIteratorBaseEENKUlvE_clEvENKUlvE_clEvEUldE_EEvS5_RKT_EUlibE_EEviT1_
    .private_segment_fixed_size: 0
    .sgpr_count:     70
    .sgpr_spill_count: 0
    .symbol:         _ZN2at6native32elementwise_kernel_manual_unrollILi128ELi4EZNS0_15gpu_kernel_implIZZZNS0_12_GLOBAL__N_121bessel_j1_kernel_cudaERNS_18TensorIteratorBaseEENKUlvE_clEvENKUlvE_clEvEUldE_EEvS5_RKT_EUlibE_EEviT1_.kd
    .uniform_work_group_size: 1
    .uses_dynamic_stack: false
    .vgpr_count:     45
    .vgpr_spill_count: 0
    .wavefront_size: 64
  - .args:
      - .offset:         0
        .size:           4
        .value_kind:     by_value
      - .offset:         8
        .size:           352
        .value_kind:     by_value
    .group_segment_fixed_size: 0
    .kernarg_segment_align: 8
    .kernarg_segment_size: 360
    .language:       OpenCL C
    .language_version:
      - 2
      - 0
    .max_flat_workgroup_size: 128
    .name:           _ZN2at6native32elementwise_kernel_manual_unrollILi128ELi4EZNS0_15gpu_kernel_implIZZZNS0_12_GLOBAL__N_121bessel_j1_kernel_cudaERNS_18TensorIteratorBaseEENKUlvE_clEvENKUlvE_clEvEUldE_EEvS5_RKT_EUlibE0_EEviT1_
    .private_segment_fixed_size: 0
    .sgpr_count:     93
    .sgpr_spill_count: 0
    .symbol:         _ZN2at6native32elementwise_kernel_manual_unrollILi128ELi4EZNS0_15gpu_kernel_implIZZZNS0_12_GLOBAL__N_121bessel_j1_kernel_cudaERNS_18TensorIteratorBaseEENKUlvE_clEvENKUlvE_clEvEUldE_EEvS5_RKT_EUlibE0_EEviT1_.kd
    .uniform_work_group_size: 1
    .uses_dynamic_stack: false
    .vgpr_count:     52
    .vgpr_spill_count: 0
    .wavefront_size: 64
  - .args:
      - .offset:         0
        .size:           4
        .value_kind:     by_value
      - .offset:         4
        .size:           1
        .value_kind:     by_value
      - .offset:         8
        .size:           16
        .value_kind:     by_value
    .group_segment_fixed_size: 0
    .kernarg_segment_align: 8
    .kernarg_segment_size: 24
    .language:       OpenCL C
    .language_version:
      - 2
      - 0
    .max_flat_workgroup_size: 256
    .name:           _ZN2at6native29vectorized_elementwise_kernelILi16EZZZNS0_12_GLOBAL__N_121bessel_j1_kernel_cudaERNS_18TensorIteratorBaseEENKUlvE_clEvENKUlvE0_clEvEUlfE_St5arrayIPcLm2EEEEviT0_T1_
    .private_segment_fixed_size: 0
    .sgpr_count:     37
    .sgpr_spill_count: 0
    .symbol:         _ZN2at6native29vectorized_elementwise_kernelILi16EZZZNS0_12_GLOBAL__N_121bessel_j1_kernel_cudaERNS_18TensorIteratorBaseEENKUlvE_clEvENKUlvE0_clEvEUlfE_St5arrayIPcLm2EEEEviT0_T1_.kd
    .uniform_work_group_size: 1
    .uses_dynamic_stack: false
    .vgpr_count:     31
    .vgpr_spill_count: 0
    .wavefront_size: 64
  - .args:
      - .offset:         0
        .size:           4
        .value_kind:     by_value
      - .offset:         4
        .size:           1
        .value_kind:     by_value
      - .offset:         8
        .size:           16
        .value_kind:     by_value
    .group_segment_fixed_size: 0
    .kernarg_segment_align: 8
    .kernarg_segment_size: 24
    .language:       OpenCL C
    .language_version:
      - 2
      - 0
    .max_flat_workgroup_size: 256
    .name:           _ZN2at6native29vectorized_elementwise_kernelILi8EZZZNS0_12_GLOBAL__N_121bessel_j1_kernel_cudaERNS_18TensorIteratorBaseEENKUlvE_clEvENKUlvE0_clEvEUlfE_St5arrayIPcLm2EEEEviT0_T1_
    .private_segment_fixed_size: 0
    .sgpr_count:     37
    .sgpr_spill_count: 0
    .symbol:         _ZN2at6native29vectorized_elementwise_kernelILi8EZZZNS0_12_GLOBAL__N_121bessel_j1_kernel_cudaERNS_18TensorIteratorBaseEENKUlvE_clEvENKUlvE0_clEvEUlfE_St5arrayIPcLm2EEEEviT0_T1_.kd
    .uniform_work_group_size: 1
    .uses_dynamic_stack: false
    .vgpr_count:     31
    .vgpr_spill_count: 0
    .wavefront_size: 64
  - .args:
      - .offset:         0
        .size:           4
        .value_kind:     by_value
      - .offset:         4
        .size:           1
        .value_kind:     by_value
      - .offset:         8
        .size:           16
        .value_kind:     by_value
    .group_segment_fixed_size: 0
    .kernarg_segment_align: 8
    .kernarg_segment_size: 24
    .language:       OpenCL C
    .language_version:
      - 2
      - 0
    .max_flat_workgroup_size: 256
    .name:           _ZN2at6native29vectorized_elementwise_kernelILi4EZZZNS0_12_GLOBAL__N_121bessel_j1_kernel_cudaERNS_18TensorIteratorBaseEENKUlvE_clEvENKUlvE0_clEvEUlfE_St5arrayIPcLm2EEEEviT0_T1_
    .private_segment_fixed_size: 0
    .sgpr_count:     37
    .sgpr_spill_count: 0
    .symbol:         _ZN2at6native29vectorized_elementwise_kernelILi4EZZZNS0_12_GLOBAL__N_121bessel_j1_kernel_cudaERNS_18TensorIteratorBaseEENKUlvE_clEvENKUlvE0_clEvEUlfE_St5arrayIPcLm2EEEEviT0_T1_.kd
    .uniform_work_group_size: 1
    .uses_dynamic_stack: false
    .vgpr_count:     31
    .vgpr_spill_count: 0
    .wavefront_size: 64
  - .args:
      - .offset:         0
        .size:           4
        .value_kind:     by_value
      - .offset:         4
        .size:           1
        .value_kind:     by_value
      - .offset:         8
        .size:           16
        .value_kind:     by_value
    .group_segment_fixed_size: 0
    .kernarg_segment_align: 8
    .kernarg_segment_size: 24
    .language:       OpenCL C
    .language_version:
      - 2
      - 0
    .max_flat_workgroup_size: 256
    .name:           _ZN2at6native29vectorized_elementwise_kernelILi2EZZZNS0_12_GLOBAL__N_121bessel_j1_kernel_cudaERNS_18TensorIteratorBaseEENKUlvE_clEvENKUlvE0_clEvEUlfE_St5arrayIPcLm2EEEEviT0_T1_
    .private_segment_fixed_size: 0
    .sgpr_count:     37
    .sgpr_spill_count: 0
    .symbol:         _ZN2at6native29vectorized_elementwise_kernelILi2EZZZNS0_12_GLOBAL__N_121bessel_j1_kernel_cudaERNS_18TensorIteratorBaseEENKUlvE_clEvENKUlvE0_clEvEUlfE_St5arrayIPcLm2EEEEviT0_T1_.kd
    .uniform_work_group_size: 1
    .uses_dynamic_stack: false
    .vgpr_count:     31
    .vgpr_spill_count: 0
    .wavefront_size: 64
  - .args:
      - .offset:         0
        .size:           4
        .value_kind:     by_value
      - .offset:         4
        .size:           1
        .value_kind:     by_value
      - .offset:         8
        .size:           16
        .value_kind:     by_value
      - .offset:         24
        .size:           1
        .value_kind:     by_value
      - .offset:         25
        .size:           1
        .value_kind:     by_value
      - .offset:         26
        .size:           1
        .value_kind:     by_value
      - .offset:         27
        .size:           1
        .value_kind:     by_value
    .group_segment_fixed_size: 0
    .kernarg_segment_align: 8
    .kernarg_segment_size: 28
    .language:       OpenCL C
    .language_version:
      - 2
      - 0
    .max_flat_workgroup_size: 256
    .name:           _ZN2at6native27unrolled_elementwise_kernelIZZZNS0_12_GLOBAL__N_121bessel_j1_kernel_cudaERNS_18TensorIteratorBaseEENKUlvE_clEvENKUlvE0_clEvEUlfE_St5arrayIPcLm2EELi4E23TrivialOffsetCalculatorILi1EjESC_NS0_6memory15LoadWithoutCastENSD_16StoreWithoutCastEEEviT_T0_T2_T3_T4_T5_
    .private_segment_fixed_size: 0
    .sgpr_count:     37
    .sgpr_spill_count: 0
    .symbol:         _ZN2at6native27unrolled_elementwise_kernelIZZZNS0_12_GLOBAL__N_121bessel_j1_kernel_cudaERNS_18TensorIteratorBaseEENKUlvE_clEvENKUlvE0_clEvEUlfE_St5arrayIPcLm2EELi4E23TrivialOffsetCalculatorILi1EjESC_NS0_6memory15LoadWithoutCastENSD_16StoreWithoutCastEEEviT_T0_T2_T3_T4_T5_.kd
    .uniform_work_group_size: 1
    .uses_dynamic_stack: false
    .vgpr_count:     31
    .vgpr_spill_count: 0
    .wavefront_size: 64
  - .args:
      - .offset:         0
        .size:           4
        .value_kind:     by_value
      - .offset:         8
        .size:           352
        .value_kind:     by_value
    .group_segment_fixed_size: 0
    .kernarg_segment_align: 8
    .kernarg_segment_size: 360
    .language:       OpenCL C
    .language_version:
      - 2
      - 0
    .max_flat_workgroup_size: 128
    .name:           _ZN2at6native32elementwise_kernel_manual_unrollILi128ELi4EZNS0_22gpu_kernel_impl_nocastIZZZNS0_12_GLOBAL__N_121bessel_j1_kernel_cudaERNS_18TensorIteratorBaseEENKUlvE_clEvENKUlvE0_clEvEUlfE_EEvS5_RKT_EUlibE_EEviT1_
    .private_segment_fixed_size: 0
    .sgpr_count:     68
    .sgpr_spill_count: 0
    .symbol:         _ZN2at6native32elementwise_kernel_manual_unrollILi128ELi4EZNS0_22gpu_kernel_impl_nocastIZZZNS0_12_GLOBAL__N_121bessel_j1_kernel_cudaERNS_18TensorIteratorBaseEENKUlvE_clEvENKUlvE0_clEvEUlfE_EEvS5_RKT_EUlibE_EEviT1_.kd
    .uniform_work_group_size: 1
    .uses_dynamic_stack: false
    .vgpr_count:     29
    .vgpr_spill_count: 0
    .wavefront_size: 64
  - .args:
      - .offset:         0
        .size:           4
        .value_kind:     by_value
      - .offset:         8
        .size:           32
        .value_kind:     by_value
    .group_segment_fixed_size: 0
    .kernarg_segment_align: 8
    .kernarg_segment_size: 40
    .language:       OpenCL C
    .language_version:
      - 2
      - 0
    .max_flat_workgroup_size: 128
    .name:           _ZN2at6native32elementwise_kernel_manual_unrollILi128ELi4EZNS0_15gpu_kernel_implIZZZNS0_12_GLOBAL__N_121bessel_j1_kernel_cudaERNS_18TensorIteratorBaseEENKUlvE_clEvENKUlvE0_clEvEUlfE_EEvS5_RKT_EUlibE_EEviT1_
    .private_segment_fixed_size: 0
    .sgpr_count:     60
    .sgpr_spill_count: 0
    .symbol:         _ZN2at6native32elementwise_kernel_manual_unrollILi128ELi4EZNS0_15gpu_kernel_implIZZZNS0_12_GLOBAL__N_121bessel_j1_kernel_cudaERNS_18TensorIteratorBaseEENKUlvE_clEvENKUlvE0_clEvEUlfE_EEvS5_RKT_EUlibE_EEviT1_.kd
    .uniform_work_group_size: 1
    .uses_dynamic_stack: false
    .vgpr_count:     27
    .vgpr_spill_count: 0
    .wavefront_size: 64
  - .args:
      - .offset:         0
        .size:           4
        .value_kind:     by_value
      - .offset:         8
        .size:           352
        .value_kind:     by_value
    .group_segment_fixed_size: 0
    .kernarg_segment_align: 8
    .kernarg_segment_size: 360
    .language:       OpenCL C
    .language_version:
      - 2
      - 0
    .max_flat_workgroup_size: 128
    .name:           _ZN2at6native32elementwise_kernel_manual_unrollILi128ELi4EZNS0_15gpu_kernel_implIZZZNS0_12_GLOBAL__N_121bessel_j1_kernel_cudaERNS_18TensorIteratorBaseEENKUlvE_clEvENKUlvE0_clEvEUlfE_EEvS5_RKT_EUlibE0_EEviT1_
    .private_segment_fixed_size: 0
    .sgpr_count:     83
    .sgpr_spill_count: 0
    .symbol:         _ZN2at6native32elementwise_kernel_manual_unrollILi128ELi4EZNS0_15gpu_kernel_implIZZZNS0_12_GLOBAL__N_121bessel_j1_kernel_cudaERNS_18TensorIteratorBaseEENKUlvE_clEvENKUlvE0_clEvEUlfE_EEvS5_RKT_EUlibE0_EEviT1_.kd
    .uniform_work_group_size: 1
    .uses_dynamic_stack: false
    .vgpr_count:     34
    .vgpr_spill_count: 0
    .wavefront_size: 64
amdhsa.target:   amdgcn-amd-amdhsa--gfx906
amdhsa.version:
  - 1
  - 2
...

	.end_amdgpu_metadata
